;; amdgpu-corpus repo=ROCm/rocFFT kind=compiled arch=gfx1030 opt=O3
	.text
	.amdgcn_target "amdgcn-amd-amdhsa--gfx1030"
	.amdhsa_code_object_version 6
	.protected	fft_rtc_fwd_len2002_factors_2_13_7_11_wgs_182_tpt_182_halfLds_dp_ip_CI_unitstride_sbrr_C2R_dirReg ; -- Begin function fft_rtc_fwd_len2002_factors_2_13_7_11_wgs_182_tpt_182_halfLds_dp_ip_CI_unitstride_sbrr_C2R_dirReg
	.globl	fft_rtc_fwd_len2002_factors_2_13_7_11_wgs_182_tpt_182_halfLds_dp_ip_CI_unitstride_sbrr_C2R_dirReg
	.p2align	8
	.type	fft_rtc_fwd_len2002_factors_2_13_7_11_wgs_182_tpt_182_halfLds_dp_ip_CI_unitstride_sbrr_C2R_dirReg,@function
fft_rtc_fwd_len2002_factors_2_13_7_11_wgs_182_tpt_182_halfLds_dp_ip_CI_unitstride_sbrr_C2R_dirReg: ; @fft_rtc_fwd_len2002_factors_2_13_7_11_wgs_182_tpt_182_halfLds_dp_ip_CI_unitstride_sbrr_C2R_dirReg
; %bb.0:
	s_mov_b64 s[42:43], s[2:3]
	s_mov_b64 s[40:41], s[0:1]
	s_clause 0x2
	s_load_dwordx4 s[8:11], s[4:5], 0x0
	s_load_dwordx2 s[2:3], s[4:5], 0x50
	s_load_dwordx2 s[12:13], s[4:5], 0x18
	v_mul_u32_u24_e32 v1, 0x169, v0
	v_mov_b32_e32 v3, 0
	s_add_u32 s40, s40, s7
	s_addc_u32 s41, s41, 0
	v_add_nc_u32_sdwa v5, s6, v1 dst_sel:DWORD dst_unused:UNUSED_PAD src0_sel:DWORD src1_sel:WORD_1
	v_mov_b32_e32 v1, 0
	v_mov_b32_e32 v6, v3
	;; [unrolled: 1-line block ×3, first 2 shown]
	s_waitcnt lgkmcnt(0)
	v_cmp_lt_u64_e64 s0, s[10:11], 2
	s_and_b32 vcc_lo, exec_lo, s0
	s_cbranch_vccnz .LBB0_8
; %bb.1:
	s_load_dwordx2 s[0:1], s[4:5], 0x10
	v_mov_b32_e32 v1, 0
	s_add_u32 s6, s12, 8
	v_mov_b32_e32 v2, 0
	s_addc_u32 s7, s13, 0
	s_mov_b64 s[16:17], 1
	s_waitcnt lgkmcnt(0)
	s_add_u32 s14, s0, 8
	s_addc_u32 s15, s1, 0
.LBB0_2:                                ; =>This Inner Loop Header: Depth=1
	s_load_dwordx2 s[18:19], s[14:15], 0x0
                                        ; implicit-def: $vgpr7_vgpr8
	s_mov_b32 s0, exec_lo
	s_waitcnt lgkmcnt(0)
	v_or_b32_e32 v4, s19, v6
	v_cmpx_ne_u64_e32 0, v[3:4]
	s_xor_b32 s1, exec_lo, s0
	s_cbranch_execz .LBB0_4
; %bb.3:                                ;   in Loop: Header=BB0_2 Depth=1
	v_cvt_f32_u32_e32 v4, s18
	v_cvt_f32_u32_e32 v7, s19
	s_sub_u32 s0, 0, s18
	s_subb_u32 s20, 0, s19
	v_fmac_f32_e32 v4, 0x4f800000, v7
	v_rcp_f32_e32 v4, v4
	v_mul_f32_e32 v4, 0x5f7ffffc, v4
	v_mul_f32_e32 v7, 0x2f800000, v4
	v_trunc_f32_e32 v7, v7
	v_fmac_f32_e32 v4, 0xcf800000, v7
	v_cvt_u32_f32_e32 v7, v7
	v_cvt_u32_f32_e32 v4, v4
	v_mul_lo_u32 v8, s0, v7
	v_mul_hi_u32 v9, s0, v4
	v_mul_lo_u32 v10, s20, v4
	v_add_nc_u32_e32 v8, v9, v8
	v_mul_lo_u32 v9, s0, v4
	v_add_nc_u32_e32 v8, v8, v10
	v_mul_hi_u32 v10, v4, v9
	v_mul_lo_u32 v11, v4, v8
	v_mul_hi_u32 v12, v4, v8
	v_mul_hi_u32 v13, v7, v9
	v_mul_lo_u32 v9, v7, v9
	v_mul_hi_u32 v14, v7, v8
	v_mul_lo_u32 v8, v7, v8
	v_add_co_u32 v10, vcc_lo, v10, v11
	v_add_co_ci_u32_e32 v11, vcc_lo, 0, v12, vcc_lo
	v_add_co_u32 v9, vcc_lo, v10, v9
	v_add_co_ci_u32_e32 v9, vcc_lo, v11, v13, vcc_lo
	v_add_co_ci_u32_e32 v10, vcc_lo, 0, v14, vcc_lo
	v_add_co_u32 v8, vcc_lo, v9, v8
	v_add_co_ci_u32_e32 v9, vcc_lo, 0, v10, vcc_lo
	v_add_co_u32 v4, vcc_lo, v4, v8
	v_add_co_ci_u32_e32 v7, vcc_lo, v7, v9, vcc_lo
	v_mul_hi_u32 v8, s0, v4
	v_mul_lo_u32 v10, s20, v4
	v_mul_lo_u32 v9, s0, v7
	v_add_nc_u32_e32 v8, v8, v9
	v_mul_lo_u32 v9, s0, v4
	v_add_nc_u32_e32 v8, v8, v10
	v_mul_hi_u32 v10, v4, v9
	v_mul_lo_u32 v11, v4, v8
	v_mul_hi_u32 v12, v4, v8
	v_mul_hi_u32 v13, v7, v9
	v_mul_lo_u32 v9, v7, v9
	v_mul_hi_u32 v14, v7, v8
	v_mul_lo_u32 v8, v7, v8
	v_add_co_u32 v10, vcc_lo, v10, v11
	v_add_co_ci_u32_e32 v11, vcc_lo, 0, v12, vcc_lo
	v_add_co_u32 v9, vcc_lo, v10, v9
	v_add_co_ci_u32_e32 v9, vcc_lo, v11, v13, vcc_lo
	v_add_co_ci_u32_e32 v10, vcc_lo, 0, v14, vcc_lo
	v_add_co_u32 v8, vcc_lo, v9, v8
	v_add_co_ci_u32_e32 v9, vcc_lo, 0, v10, vcc_lo
	v_add_co_u32 v4, vcc_lo, v4, v8
	v_add_co_ci_u32_e32 v11, vcc_lo, v7, v9, vcc_lo
	v_mul_hi_u32 v13, v5, v4
	v_mad_u64_u32 v[9:10], null, v6, v4, 0
	v_mad_u64_u32 v[7:8], null, v5, v11, 0
	;; [unrolled: 1-line block ×3, first 2 shown]
	v_add_co_u32 v4, vcc_lo, v13, v7
	v_add_co_ci_u32_e32 v7, vcc_lo, 0, v8, vcc_lo
	v_add_co_u32 v4, vcc_lo, v4, v9
	v_add_co_ci_u32_e32 v4, vcc_lo, v7, v10, vcc_lo
	v_add_co_ci_u32_e32 v7, vcc_lo, 0, v12, vcc_lo
	v_add_co_u32 v4, vcc_lo, v4, v11
	v_add_co_ci_u32_e32 v9, vcc_lo, 0, v7, vcc_lo
	v_mul_lo_u32 v10, s19, v4
	v_mad_u64_u32 v[7:8], null, s18, v4, 0
	v_mul_lo_u32 v11, s18, v9
	v_sub_co_u32 v7, vcc_lo, v5, v7
	v_add3_u32 v8, v8, v11, v10
	v_sub_nc_u32_e32 v10, v6, v8
	v_subrev_co_ci_u32_e64 v10, s0, s19, v10, vcc_lo
	v_add_co_u32 v11, s0, v4, 2
	v_add_co_ci_u32_e64 v12, s0, 0, v9, s0
	v_sub_co_u32 v13, s0, v7, s18
	v_sub_co_ci_u32_e32 v8, vcc_lo, v6, v8, vcc_lo
	v_subrev_co_ci_u32_e64 v10, s0, 0, v10, s0
	v_cmp_le_u32_e32 vcc_lo, s18, v13
	v_cmp_eq_u32_e64 s0, s19, v8
	v_cndmask_b32_e64 v13, 0, -1, vcc_lo
	v_cmp_le_u32_e32 vcc_lo, s19, v10
	v_cndmask_b32_e64 v14, 0, -1, vcc_lo
	v_cmp_le_u32_e32 vcc_lo, s18, v7
	;; [unrolled: 2-line block ×3, first 2 shown]
	v_cndmask_b32_e64 v15, 0, -1, vcc_lo
	v_cmp_eq_u32_e32 vcc_lo, s19, v10
	v_cndmask_b32_e64 v7, v15, v7, s0
	v_cndmask_b32_e32 v10, v14, v13, vcc_lo
	v_add_co_u32 v13, vcc_lo, v4, 1
	v_add_co_ci_u32_e32 v14, vcc_lo, 0, v9, vcc_lo
	v_cmp_ne_u32_e32 vcc_lo, 0, v10
	v_cndmask_b32_e32 v8, v14, v12, vcc_lo
	v_cndmask_b32_e32 v10, v13, v11, vcc_lo
	v_cmp_ne_u32_e32 vcc_lo, 0, v7
	v_cndmask_b32_e32 v8, v9, v8, vcc_lo
	v_cndmask_b32_e32 v7, v4, v10, vcc_lo
.LBB0_4:                                ;   in Loop: Header=BB0_2 Depth=1
	s_andn2_saveexec_b32 s0, s1
	s_cbranch_execz .LBB0_6
; %bb.5:                                ;   in Loop: Header=BB0_2 Depth=1
	v_cvt_f32_u32_e32 v4, s18
	s_sub_i32 s1, 0, s18
	v_rcp_iflag_f32_e32 v4, v4
	v_mul_f32_e32 v4, 0x4f7ffffe, v4
	v_cvt_u32_f32_e32 v4, v4
	v_mul_lo_u32 v7, s1, v4
	v_mul_hi_u32 v7, v4, v7
	v_add_nc_u32_e32 v4, v4, v7
	v_mul_hi_u32 v4, v5, v4
	v_mul_lo_u32 v7, v4, s18
	v_add_nc_u32_e32 v8, 1, v4
	v_sub_nc_u32_e32 v7, v5, v7
	v_subrev_nc_u32_e32 v9, s18, v7
	v_cmp_le_u32_e32 vcc_lo, s18, v7
	v_cndmask_b32_e32 v7, v7, v9, vcc_lo
	v_cndmask_b32_e32 v4, v4, v8, vcc_lo
	v_cmp_le_u32_e32 vcc_lo, s18, v7
	v_add_nc_u32_e32 v8, 1, v4
	v_cndmask_b32_e32 v7, v4, v8, vcc_lo
	v_mov_b32_e32 v8, v3
.LBB0_6:                                ;   in Loop: Header=BB0_2 Depth=1
	s_or_b32 exec_lo, exec_lo, s0
	s_load_dwordx2 s[0:1], s[6:7], 0x0
	v_mul_lo_u32 v4, v8, s18
	v_mul_lo_u32 v11, v7, s19
	v_mad_u64_u32 v[9:10], null, v7, s18, 0
	s_add_u32 s16, s16, 1
	s_addc_u32 s17, s17, 0
	s_add_u32 s6, s6, 8
	s_addc_u32 s7, s7, 0
	;; [unrolled: 2-line block ×3, first 2 shown]
	v_add3_u32 v4, v10, v11, v4
	v_sub_co_u32 v5, vcc_lo, v5, v9
	v_sub_co_ci_u32_e32 v4, vcc_lo, v6, v4, vcc_lo
	s_waitcnt lgkmcnt(0)
	v_mul_lo_u32 v6, s1, v5
	v_mul_lo_u32 v4, s0, v4
	v_mad_u64_u32 v[1:2], null, s0, v5, v[1:2]
	v_cmp_ge_u64_e64 s0, s[16:17], s[10:11]
	s_and_b32 vcc_lo, exec_lo, s0
	v_add3_u32 v2, v6, v2, v4
	s_cbranch_vccnz .LBB0_9
; %bb.7:                                ;   in Loop: Header=BB0_2 Depth=1
	v_mov_b32_e32 v5, v7
	v_mov_b32_e32 v6, v8
	s_branch .LBB0_2
.LBB0_8:
	v_mov_b32_e32 v8, v6
	v_mov_b32_e32 v7, v5
.LBB0_9:
	s_lshl_b64 s[0:1], s[10:11], 3
	v_mul_hi_u32 v5, 0x1681682, v0
	s_add_u32 s0, s12, s0
	s_addc_u32 s1, s13, s1
	s_load_dwordx2 s[0:1], s[0:1], 0x0
	s_load_dwordx2 s[4:5], s[4:5], 0x20
	s_waitcnt lgkmcnt(0)
	v_mul_lo_u32 v3, s0, v8
	v_mul_lo_u32 v4, s1, v7
	v_mad_u64_u32 v[1:2], null, s0, v7, v[1:2]
	v_cmp_gt_u64_e32 vcc_lo, s[4:5], v[7:8]
	v_add3_u32 v2, v4, v2, v3
	v_mul_u32_u24_e32 v3, 0xb6, v5
	v_lshlrev_b64 v[1:2], 4, v[1:2]
	v_sub_nc_u32_e32 v100, v0, v3
	buffer_store_dword v1, off, s[40:43], 0 ; 4-byte Folded Spill
	buffer_store_dword v2, off, s[40:43], 0 offset:4 ; 4-byte Folded Spill
	s_and_saveexec_b32 s1, vcc_lo
	s_cbranch_execz .LBB0_13
; %bb.10:
	s_clause 0x1
	buffer_load_dword v0, off, s[40:43], 0
	buffer_load_dword v1, off, s[40:43], 0 offset:4
	v_mov_b32_e32 v101, 0
	v_lshl_add_u32 v46, v100, 4, 0
	s_mov_b32 s4, exec_lo
	v_lshlrev_b64 v[2:3], 4, v[100:101]
	s_waitcnt vmcnt(1)
	v_add_co_u32 v0, s0, s2, v0
	s_waitcnt vmcnt(0)
	v_add_co_ci_u32_e64 v1, s0, s3, v1, s0
	v_add_co_u32 v26, s0, v0, v2
	v_add_co_ci_u32_e64 v27, s0, v1, v3, s0
	v_add_co_u32 v6, s0, 0x800, v26
	;; [unrolled: 2-line block ×11, first 2 shown]
	v_add_co_ci_u32_e64 v43, s0, 0, v27, s0
	s_clause 0xa
	global_load_dwordx4 v[2:5], v[26:27], off
	global_load_dwordx4 v[6:9], v[6:7], off offset:864
	global_load_dwordx4 v[10:13], v[10:11], off offset:1728
	;; [unrolled: 1-line block ×10, first 2 shown]
	s_waitcnt vmcnt(10)
	ds_write_b128 v46, v[2:5]
	s_waitcnt vmcnt(9)
	ds_write_b128 v46, v[6:9] offset:2912
	s_waitcnt vmcnt(8)
	ds_write_b128 v46, v[10:13] offset:5824
	;; [unrolled: 2-line block ×10, first 2 shown]
	v_cmpx_eq_u32_e32 0xb5, v100
	s_cbranch_execz .LBB0_12
; %bb.11:
	v_add_co_u32 v0, s0, 0x7800, v0
	v_add_co_ci_u32_e64 v1, s0, 0, v1, s0
	v_mov_b32_e32 v100, 0xb5
	global_load_dwordx4 v[0:3], v[0:1], off offset:1312
	s_waitcnt vmcnt(0)
	ds_write_b128 v101, v[0:3] offset:32032
.LBB0_12:
	s_or_b32 exec_lo, exec_lo, s4
.LBB0_13:
	s_or_b32 exec_lo, exec_lo, s1
	v_lshlrev_b32_e32 v0, 4, v100
	s_waitcnt lgkmcnt(0)
	s_waitcnt_vscnt null, 0x0
	s_barrier
	buffer_gl0_inv
	s_add_u32 s1, s8, 0x7d00
	v_add_nc_u32_e32 v249, 0, v0
	v_sub_nc_u32_e32 v8, 0, v0
	s_addc_u32 s4, s9, 0
	s_mov_b32 s5, exec_lo
	ds_read_b64 v[4:5], v249
	ds_read_b64 v[6:7], v8 offset:32032
	s_waitcnt lgkmcnt(0)
	v_add_f64 v[0:1], v[4:5], v[6:7]
	v_add_f64 v[2:3], v[4:5], -v[6:7]
	v_cmpx_ne_u32_e32 0, v100
	s_xor_b32 s5, exec_lo, s5
	s_cbranch_execz .LBB0_15
; %bb.14:
	v_mov_b32_e32 v101, 0
	v_add_f64 v[13:14], v[4:5], v[6:7]
	v_add_f64 v[15:16], v[4:5], -v[6:7]
	v_lshlrev_b64 v[0:1], 4, v[100:101]
	v_add_co_u32 v0, s0, s1, v0
	v_add_co_ci_u32_e64 v1, s0, s4, v1, s0
	global_load_dwordx4 v[9:12], v[0:1], off
	ds_read_b64 v[0:1], v8 offset:32040
	ds_read_b64 v[2:3], v249 offset:8
	s_waitcnt lgkmcnt(0)
	v_add_f64 v[4:5], v[0:1], v[2:3]
	v_add_f64 v[0:1], v[2:3], -v[0:1]
	s_waitcnt vmcnt(0)
	v_fma_f64 v[2:3], v[15:16], v[11:12], v[13:14]
	v_fma_f64 v[6:7], -v[15:16], v[11:12], v[13:14]
	v_fma_f64 v[13:14], v[4:5], v[11:12], -v[0:1]
	v_fma_f64 v[11:12], v[4:5], v[11:12], v[0:1]
	v_fma_f64 v[0:1], -v[4:5], v[9:10], v[2:3]
	v_fma_f64 v[4:5], v[4:5], v[9:10], v[6:7]
	v_fma_f64 v[6:7], v[15:16], v[9:10], v[13:14]
	;; [unrolled: 1-line block ×3, first 2 shown]
	ds_write_b128 v8, v[4:7] offset:32032
.LBB0_15:
	s_andn2_saveexec_b32 s0, s5
	s_cbranch_execz .LBB0_17
; %bb.16:
	v_mov_b32_e32 v9, 0
	ds_read_b128 v[4:7], v9 offset:16016
	s_waitcnt lgkmcnt(0)
	v_add_f64 v[4:5], v[4:5], v[4:5]
	v_mul_f64 v[6:7], v[6:7], -2.0
	ds_write_b128 v9, v[4:7] offset:16016
.LBB0_17:
	s_or_b32 exec_lo, exec_lo, s0
	v_add_nc_u32_e32 v104, 0xb6, v100
	v_mov_b32_e32 v105, 0
	v_add_nc_u32_e32 v48, 0x16c, v100
	ds_write_b128 v249, v[0:3]
	v_lshlrev_b64 v[4:5], 4, v[104:105]
	v_mov_b32_e32 v49, v105
	v_mov_b32_e32 v50, v105
	;; [unrolled: 1-line block ×3, first 2 shown]
	v_lshlrev_b64 v[9:10], 4, v[48:49]
	v_add_co_u32 v4, s0, s1, v4
	v_add_co_ci_u32_e64 v5, s0, s4, v5, s0
	v_add_nc_u32_e32 v49, 0x222, v100
	v_add_co_u32 v9, s0, s1, v9
	global_load_dwordx4 v[4:7], v[4:5], off
	v_add_co_ci_u32_e64 v10, s0, s4, v10, s0
	v_lshlrev_b64 v[13:14], 4, v[49:50]
	v_add_nc_u32_e32 v50, 0x2d8, v100
	global_load_dwordx4 v[9:12], v[9:10], off
	v_add_co_u32 v13, s0, s1, v13
	v_add_co_ci_u32_e64 v14, s0, s4, v14, s0
	v_lshlrev_b64 v[17:18], 4, v[50:51]
	v_add_nc_u32_e32 v51, 0x38e, v100
	global_load_dwordx4 v[13:16], v[13:14], off
	v_add_co_u32 v21, s0, s1, v17
	v_add_co_ci_u32_e64 v22, s0, s4, v18, s0
	ds_read_b128 v[0:3], v249 offset:2912
	ds_read_b128 v[17:20], v8 offset:29120
	v_cmp_gt_u32_e64 s0, 0x5b, v100
	global_load_dwordx4 v[21:24], v[21:22], off
	s_waitcnt lgkmcnt(0)
	v_add_f64 v[25:26], v[0:1], v[17:18]
	v_add_f64 v[27:28], v[19:20], v[2:3]
	v_add_f64 v[29:30], v[0:1], -v[17:18]
	v_add_f64 v[0:1], v[2:3], -v[19:20]
	s_waitcnt vmcnt(3)
	v_fma_f64 v[2:3], v[29:30], v[6:7], v[25:26]
	v_fma_f64 v[17:18], v[27:28], v[6:7], v[0:1]
	v_fma_f64 v[19:20], -v[29:30], v[6:7], v[25:26]
	v_fma_f64 v[6:7], v[27:28], v[6:7], -v[0:1]
	v_fma_f64 v[0:1], -v[27:28], v[4:5], v[2:3]
	v_fma_f64 v[2:3], v[29:30], v[4:5], v[17:18]
	v_fma_f64 v[17:18], v[27:28], v[4:5], v[19:20]
	v_fma_f64 v[19:20], v[29:30], v[4:5], v[6:7]
	ds_write_b128 v249, v[0:3] offset:2912
	ds_write_b128 v8, v[17:20] offset:29120
	ds_read_b128 v[0:3], v249 offset:5824
	ds_read_b128 v[4:7], v8 offset:26208
	s_waitcnt lgkmcnt(0)
	v_add_f64 v[17:18], v[0:1], v[4:5]
	v_add_f64 v[19:20], v[6:7], v[2:3]
	v_add_f64 v[25:26], v[0:1], -v[4:5]
	v_add_f64 v[0:1], v[2:3], -v[6:7]
	s_waitcnt vmcnt(2)
	v_fma_f64 v[2:3], v[25:26], v[11:12], v[17:18]
	v_fma_f64 v[4:5], v[19:20], v[11:12], v[0:1]
	v_fma_f64 v[6:7], -v[25:26], v[11:12], v[17:18]
	v_fma_f64 v[11:12], v[19:20], v[11:12], -v[0:1]
	v_fma_f64 v[0:1], -v[19:20], v[9:10], v[2:3]
	v_fma_f64 v[2:3], v[25:26], v[9:10], v[4:5]
	v_fma_f64 v[4:5], v[19:20], v[9:10], v[6:7]
	v_fma_f64 v[6:7], v[25:26], v[9:10], v[11:12]
	ds_write_b128 v249, v[0:3] offset:5824
	ds_write_b128 v8, v[4:7] offset:26208
	ds_read_b128 v[0:3], v249 offset:8736
	ds_read_b128 v[4:7], v8 offset:23296
	;; [unrolled: 18-line block ×3, first 2 shown]
	s_waitcnt lgkmcnt(0)
	v_add_f64 v[9:10], v[0:1], v[4:5]
	v_add_f64 v[11:12], v[6:7], v[2:3]
	v_add_f64 v[13:14], v[0:1], -v[4:5]
	v_add_f64 v[0:1], v[2:3], -v[6:7]
	s_waitcnt vmcnt(0)
	v_fma_f64 v[2:3], v[13:14], v[23:24], v[9:10]
	v_fma_f64 v[4:5], v[11:12], v[23:24], v[0:1]
	v_fma_f64 v[6:7], -v[13:14], v[23:24], v[9:10]
	v_fma_f64 v[9:10], v[11:12], v[23:24], -v[0:1]
	v_fma_f64 v[0:1], -v[11:12], v[21:22], v[2:3]
	v_fma_f64 v[2:3], v[13:14], v[21:22], v[4:5]
	v_fma_f64 v[4:5], v[11:12], v[21:22], v[6:7]
	;; [unrolled: 1-line block ×3, first 2 shown]
	ds_write_b128 v249, v[0:3] offset:11648
	ds_write_b128 v8, v[4:7] offset:20384
	s_and_saveexec_b32 s5, s0
	s_cbranch_execz .LBB0_19
; %bb.18:
	v_mov_b32_e32 v52, v105
	v_lshlrev_b64 v[0:1], 4, v[51:52]
	v_add_co_u32 v0, s1, s1, v0
	v_add_co_ci_u32_e64 v1, s1, s4, v1, s1
	global_load_dwordx4 v[0:3], v[0:1], off
	ds_read_b128 v[4:7], v249 offset:14560
	ds_read_b128 v[9:12], v8 offset:17472
	s_waitcnt lgkmcnt(0)
	v_add_f64 v[13:14], v[4:5], v[9:10]
	v_add_f64 v[15:16], v[11:12], v[6:7]
	v_add_f64 v[17:18], v[4:5], -v[9:10]
	v_add_f64 v[4:5], v[6:7], -v[11:12]
	s_waitcnt vmcnt(0)
	v_fma_f64 v[6:7], v[17:18], v[2:3], v[13:14]
	v_fma_f64 v[9:10], v[15:16], v[2:3], v[4:5]
	v_fma_f64 v[11:12], -v[17:18], v[2:3], v[13:14]
	v_fma_f64 v[13:14], v[15:16], v[2:3], -v[4:5]
	v_fma_f64 v[2:3], -v[15:16], v[0:1], v[6:7]
	v_fma_f64 v[4:5], v[17:18], v[0:1], v[9:10]
	v_fma_f64 v[9:10], v[15:16], v[0:1], v[11:12]
	;; [unrolled: 1-line block ×3, first 2 shown]
	ds_write_b128 v249, v[2:5] offset:14560
	ds_write_b128 v8, v[9:12] offset:17472
.LBB0_19:
	s_or_b32 exec_lo, exec_lo, s5
	s_waitcnt lgkmcnt(0)
	s_barrier
	buffer_gl0_inv
	s_barrier
	buffer_gl0_inv
	ds_read_b128 v[0:3], v249 offset:16016
	ds_read_b128 v[16:19], v249
	ds_read_b128 v[24:27], v249 offset:2912
	ds_read_b128 v[8:11], v249 offset:18928
	ds_read_b128 v[12:15], v249 offset:21840
	ds_read_b128 v[28:31], v249 offset:5824
	ds_read_b128 v[36:39], v249 offset:8736
	ds_read_b128 v[20:23], v249 offset:24752
	ds_read_b128 v[32:35], v249 offset:27664
	ds_read_b128 v[40:43], v249 offset:11648
	ds_read_b128 v[52:55], v249 offset:14560
	ds_read_b128 v[44:47], v249 offset:30576
	v_lshl_add_u32 v48, v48, 5, 0
	v_lshl_add_u32 v49, v49, 5, 0
	s_waitcnt lgkmcnt(0)
	s_barrier
	buffer_gl0_inv
	v_lshl_add_u32 v50, v50, 5, 0
	v_add_f64 v[4:5], v[16:17], -v[0:1]
	v_add_f64 v[6:7], v[18:19], -v[2:3]
	;; [unrolled: 1-line block ×12, first 2 shown]
	v_fma_f64 v[0:1], v[16:17], 2.0, -v[4:5]
	v_fma_f64 v[2:3], v[18:19], 2.0, -v[6:7]
	;; [unrolled: 1-line block ×12, first 2 shown]
	v_lshl_add_u32 v52, v100, 4, v249
	v_lshl_add_u32 v53, v104, 5, 0
	ds_write_b128 v52, v[4:7] offset:16
	ds_write_b128 v53, v[8:11] offset:16
	;; [unrolled: 1-line block ×4, first 2 shown]
	ds_write_b128 v52, v[0:3]
	ds_write_b128 v53, v[16:19]
	ds_write_b128 v48, v[24:27]
	ds_write_b128 v49, v[28:31]
	ds_write_b128 v50, v[36:39]
	ds_write_b128 v50, v[32:35] offset:16
	s_and_saveexec_b32 s1, s0
	s_cbranch_execz .LBB0_21
; %bb.20:
	v_lshl_add_u32 v48, v51, 5, 0
	ds_write_b128 v48, v[40:43]
	ds_write_b128 v48, v[44:47] offset:16
.LBB0_21:
	s_or_b32 exec_lo, exec_lo, s1
	v_cmp_gt_u32_e64 s0, 0x9a, v100
	s_waitcnt lgkmcnt(0)
	s_barrier
	buffer_gl0_inv
                                        ; implicit-def: $vgpr50_vgpr51
	s_and_saveexec_b32 s1, s0
	s_cbranch_execz .LBB0_23
; %bb.22:
	ds_read_b128 v[0:3], v249
	ds_read_b128 v[4:7], v249 offset:2464
	ds_read_b128 v[16:19], v249 offset:4928
	;; [unrolled: 1-line block ×12, first 2 shown]
.LBB0_23:
	s_or_b32 exec_lo, exec_lo, s1
	v_and_b32_e32 v101, 1, v100
	s_mov_b32 s24, 0x24c2f84
	s_mov_b32 s25, 0xbfe5384d
	;; [unrolled: 1-line block ×4, first 2 shown]
	v_mul_u32_u24_e32 v52, 12, v101
	s_mov_b32 s20, 0x42a4c3d2
	s_mov_b32 s19, 0xbfddbe06
	;; [unrolled: 1-line block ×4, first 2 shown]
	v_lshlrev_b32_e32 v56, 4, v52
	s_mov_b32 s4, 0xe00740e9
	s_mov_b32 s6, 0x1ea71119
	;; [unrolled: 1-line block ×4, first 2 shown]
	s_clause 0xb
	global_load_dwordx4 v[52:55], v56, s[8:9]
	global_load_dwordx4 v[96:99], v56, s[8:9] offset:176
	global_load_dwordx4 v[88:91], v56, s[8:9] offset:16
	global_load_dwordx4 v[92:95], v56, s[8:9] offset:160
	global_load_dwordx4 v[84:87], v56, s[8:9] offset:32
	global_load_dwordx4 v[80:83], v56, s[8:9] offset:144
	global_load_dwordx4 v[76:79], v56, s[8:9] offset:48
	global_load_dwordx4 v[72:75], v56, s[8:9] offset:128
	global_load_dwordx4 v[68:71], v56, s[8:9] offset:64
	global_load_dwordx4 v[64:67], v56, s[8:9] offset:112
	global_load_dwordx4 v[60:63], v56, s[8:9] offset:80
	global_load_dwordx4 v[56:59], v56, s[8:9] offset:96
	s_mov_b32 s5, 0x3fec55a7
	s_mov_b32 s7, 0x3fe22d96
	s_mov_b32 s27, 0xbfefc445
	s_mov_b32 s23, 0xbfedeba7
	s_mov_b32 s10, 0xebaa3ed8
	s_mov_b32 s12, 0xb2365da1
	s_mov_b32 s11, 0x3fbedb7d
	s_mov_b32 s13, 0xbfd6b1d8
	s_mov_b32 s14, 0x93053d00
	s_mov_b32 s15, 0xbfef11f4
	s_mov_b32 s35, 0x3fe5384d
	s_mov_b32 s39, 0x3fedeba7
	s_mov_b32 s34, s24
	s_mov_b32 s38, s22
	s_mov_b32 s16, 0xd0032e0c
	s_mov_b32 s17, 0xbfe7f3cc
	s_mov_b32 s31, 0x3fefc445
	s_mov_b32 s30, s26
	s_mov_b32 s37, 0x3fcea1e5
	s_mov_b32 s36, s28
	s_waitcnt vmcnt(11) lgkmcnt(11)
	v_mul_f64 v[105:106], v[4:5], v[54:55]
	v_mul_f64 v[54:55], v[6:7], v[54:55]
	s_waitcnt vmcnt(10) lgkmcnt(0)
	v_mul_f64 v[107:108], v[48:49], v[98:99]
	s_waitcnt vmcnt(8)
	v_mul_f64 v[111:112], v[46:47], v[94:95]
	v_mul_f64 v[94:95], v[44:45], v[94:95]
	s_waitcnt vmcnt(7)
	v_mul_f64 v[113:114], v[10:11], v[86:87]
	v_mul_f64 v[86:87], v[8:9], v[86:87]
	;; [unrolled: 1-line block ×5, first 2 shown]
	s_waitcnt vmcnt(5)
	v_mul_f64 v[117:118], v[26:27], v[78:79]
	v_mul_f64 v[78:79], v[24:25], v[78:79]
	;; [unrolled: 1-line block ×4, first 2 shown]
	s_waitcnt vmcnt(4)
	v_mul_f64 v[119:120], v[34:35], v[74:75]
	v_mul_f64 v[74:75], v[32:33], v[74:75]
	v_fma_f64 v[165:166], v[6:7], v[52:53], v[105:106]
	v_fma_f64 v[157:158], v[4:5], v[52:53], -v[54:55]
	s_waitcnt vmcnt(3)
	v_mul_f64 v[6:7], v[12:13], v[70:71]
	s_waitcnt vmcnt(2)
	v_mul_f64 v[52:53], v[36:37], v[66:67]
	v_mul_f64 v[4:5], v[14:15], v[70:71]
	v_mul_f64 v[54:55], v[38:39], v[66:67]
	s_waitcnt vmcnt(1)
	v_mul_f64 v[66:67], v[30:31], v[62:63]
	v_mul_f64 v[62:63], v[28:29], v[62:63]
	s_waitcnt vmcnt(0)
	v_mul_f64 v[70:71], v[20:21], v[58:59]
	v_mul_f64 v[58:59], v[22:23], v[58:59]
	v_fma_f64 v[44:45], v[44:45], v[92:93], -v[111:112]
	v_fma_f64 v[46:47], v[46:47], v[92:93], v[94:95]
	v_fma_f64 v[149:150], v[8:9], v[84:85], -v[113:114]
	v_fma_f64 v[151:152], v[10:11], v[84:85], v[86:87]
	v_fma_f64 v[50:51], v[50:51], v[96:97], v[107:108]
	v_fma_f64 v[48:49], v[48:49], v[96:97], -v[98:99]
	v_fma_f64 v[163:164], v[18:19], v[88:89], v[90:91]
	v_fma_f64 v[161:162], v[16:17], v[88:89], -v[109:110]
	v_fma_f64 v[131:132], v[24:25], v[76:77], -v[117:118]
	v_fma_f64 v[133:134], v[26:27], v[76:77], v[78:79]
	v_fma_f64 v[42:43], v[42:43], v[80:81], v[82:83]
	v_fma_f64 v[40:41], v[40:41], v[80:81], -v[115:116]
	v_fma_f64 v[34:35], v[34:35], v[72:73], v[74:75]
	v_fma_f64 v[32:33], v[32:33], v[72:73], -v[119:120]
	v_fma_f64 v[111:112], v[14:15], v[68:69], v[6:7]
	v_fma_f64 v[38:39], v[38:39], v[64:65], v[52:53]
	v_fma_f64 v[105:106], v[12:13], v[68:69], -v[4:5]
	v_fma_f64 v[36:37], v[36:37], v[64:65], -v[54:55]
	;; [unrolled: 1-line block ×3, first 2 shown]
	v_fma_f64 v[92:93], v[30:31], v[60:61], v[62:63]
	v_fma_f64 v[68:69], v[22:23], v[56:57], v[70:71]
	v_fma_f64 v[66:67], v[20:21], v[56:57], -v[58:59]
	v_add_f64 v[24:25], v[165:166], -v[50:51]
	v_add_f64 v[26:27], v[157:158], -v[48:49]
	v_add_f64 v[173:174], v[157:158], v[48:49]
	v_add_f64 v[4:5], v[163:164], -v[46:47]
	v_add_f64 v[177:178], v[165:166], v[50:51]
	;; [unrolled: 2-line block ×3, first 2 shown]
	v_add_f64 v[145:146], v[163:164], v[46:47]
	v_add_f64 v[20:21], v[151:152], -v[42:43]
	v_add_f64 v[221:222], v[149:150], -v[40:41]
	v_add_f64 v[135:136], v[149:150], v[40:41]
	v_add_f64 v[233:234], v[111:112], -v[38:39]
	v_add_f64 v[137:138], v[151:152], v[42:43]
	v_add_f64 v[225:226], v[133:134], -v[34:35]
	v_add_f64 v[227:228], v[131:132], -v[32:33]
	v_add_f64 v[121:122], v[131:132], v[32:33]
	v_add_f64 v[241:242], v[92:93], -v[68:69]
	;; [unrolled: 3-line block ×3, first 2 shown]
	v_add_f64 v[98:99], v[105:106], v[36:37]
	v_add_f64 v[109:110], v[111:112], v[38:39]
	v_mul_f64 v[175:176], v[24:25], s[18:19]
	v_mul_f64 v[179:180], v[26:27], s[18:19]
	;; [unrolled: 1-line block ×22, first 2 shown]
	v_fma_f64 v[8:9], v[173:174], s[4:5], v[175:176]
	v_fma_f64 v[10:11], v[177:178], s[4:5], -v[179:180]
	v_fma_f64 v[12:13], v[173:174], s[6:7], v[183:184]
	v_fma_f64 v[14:15], v[177:178], s[6:7], -v[187:188]
	;; [unrolled: 2-line block ×4, first 2 shown]
	buffer_store_dword v52, off, s[40:43], 0 offset:24 ; 4-byte Folded Spill
	buffer_store_dword v53, off, s[40:43], 0 offset:28 ; 4-byte Folded Spill
	buffer_store_dword v28, off, s[40:43], 0 offset:8 ; 4-byte Folded Spill
	buffer_store_dword v29, off, s[40:43], 0 offset:12 ; 4-byte Folded Spill
	buffer_store_dword v30, off, s[40:43], 0 offset:16 ; 4-byte Folded Spill
	buffer_store_dword v31, off, s[40:43], 0 offset:20 ; 4-byte Folded Spill
	v_fma_f64 v[22:23], v[173:174], s[10:11], v[205:206]
	v_fma_f64 v[139:140], v[177:178], s[10:11], -v[211:212]
	v_mul_f64 v[70:71], v[227:228], s[22:23]
	v_mul_f64 v[72:73], v[225:226], s[34:35]
	v_add_f64 v[8:9], v[0:1], v[8:9]
	v_add_f64 v[10:11], v[2:3], v[10:11]
	;; [unrolled: 1-line block ×4, first 2 shown]
	v_mul_f64 v[76:77], v[227:228], s[34:35]
	v_mul_f64 v[115:116], v[20:21], s[38:39]
	;; [unrolled: 1-line block ×5, first 2 shown]
	v_fma_f64 v[171:172], v[135:136], s[10:11], v[78:79]
	v_fma_f64 v[181:182], v[145:146], s[14:15], -v[153:154]
	v_fma_f64 v[185:186], v[135:136], s[14:15], v[86:87]
	v_mul_f64 v[239:240], v[24:25], s[24:25]
	v_mul_f64 v[243:244], v[26:27], s[24:25]
	v_fma_f64 v[191:192], v[173:174], s[12:13], v[217:218]
	v_fma_f64 v[195:196], v[177:178], s[12:13], -v[219:220]
	s_mov_b32 s19, 0x3fddbe06
	v_mul_f64 v[54:55], v[235:236], s[24:25]
	v_add_f64 v[22:23], v[0:1], v[22:23]
	v_add_f64 v[139:140], v[2:3], v[139:140]
	v_mul_f64 v[56:57], v[233:234], s[30:31]
	v_mul_f64 v[60:61], v[235:236], s[30:31]
	v_add_f64 v[8:9], v[16:17], v[8:9]
	v_fma_f64 v[16:17], v[137:138], s[10:11], -v[82:83]
	v_add_f64 v[10:11], v[18:19], v[10:11]
	v_fma_f64 v[18:19], v[143:144], s[14:15], v[147:148]
	v_add_f64 v[12:13], v[141:142], v[12:13]
	v_fma_f64 v[141:142], v[137:138], s[14:15], -v[94:95]
	v_add_f64 v[14:15], v[155:156], v[14:15]
	v_mul_f64 v[193:194], v[4:5], s[30:31]
	v_mul_f64 v[201:202], v[6:7], s[30:31]
	;; [unrolled: 1-line block ×4, first 2 shown]
	v_fma_f64 v[197:198], v[121:122], s[12:13], v[64:65]
	v_fma_f64 v[199:200], v[121:122], s[16:17], v[72:73]
	v_fma_f64 v[207:208], v[123:124], s[16:17], -v[76:77]
	v_fma_f64 v[209:210], v[173:174], s[16:17], v[239:240]
	v_mul_f64 v[189:190], v[221:222], s[18:19]
	v_fma_f64 v[213:214], v[177:178], s[16:17], -v[243:244]
	v_fma_f64 v[223:224], v[143:144], s[16:17], v[167:168]
	v_add_f64 v[191:192], v[0:1], v[191:192]
	v_add_f64 v[181:182], v[181:182], v[139:140]
	v_fma_f64 v[229:230], v[145:146], s[16:17], -v[169:170]
	v_add_f64 v[195:196], v[2:3], v[195:196]
	v_add_f64 v[8:9], v[171:172], v[8:9]
	v_fma_f64 v[171:172], v[123:124], s[12:13], -v[70:71]
	v_add_f64 v[10:11], v[16:17], v[10:11]
	v_fma_f64 v[16:17], v[135:136], s[12:13], v[115:116]
	v_add_f64 v[18:19], v[18:19], v[22:23]
	v_fma_f64 v[22:23], v[137:138], s[12:13], -v[129:130]
	v_add_f64 v[12:13], v[185:186], v[12:13]
	v_add_f64 v[14:15], v[141:142], v[14:15]
	v_mul_f64 v[185:186], v[20:21], s[18:19]
	v_add_f64 v[88:89], v[84:85], v[66:67]
	v_add_f64 v[90:91], v[92:93], v[68:69]
	v_mul_f64 v[74:75], v[233:234], s[20:21]
	v_mul_f64 v[80:81], v[235:236], s[20:21]
	;; [unrolled: 1-line block ×8, first 2 shown]
	v_fma_f64 v[237:238], v[121:122], s[4:5], v[155:156]
	v_add_f64 v[245:246], v[0:1], v[209:210]
	v_fma_f64 v[247:248], v[145:146], s[10:11], -v[201:202]
	v_add_f64 v[8:9], v[197:198], v[8:9]
	v_fma_f64 v[197:198], v[109:110], s[16:17], -v[54:55]
	v_add_f64 v[10:11], v[171:172], v[10:11]
	v_add_f64 v[213:214], v[2:3], v[213:214]
	;; [unrolled: 1-line block ×3, first 2 shown]
	v_fma_f64 v[18:19], v[123:124], s[4:5], -v[159:160]
	v_add_f64 v[22:23], v[22:23], v[181:182]
	v_fma_f64 v[181:182], v[98:99], s[10:11], v[56:57]
	v_add_f64 v[12:13], v[199:200], v[12:13]
	v_fma_f64 v[199:200], v[109:110], s[10:11], -v[60:61]
	v_add_f64 v[14:15], v[207:208], v[14:15]
	v_fma_f64 v[207:208], v[143:144], s[10:11], v[193:194]
	v_fma_f64 v[252:253], v[135:136], s[4:5], v[185:186]
	v_add_f64 v[223:224], v[223:224], v[191:192]
	v_fma_f64 v[254:255], v[137:138], s[4:5], -v[189:190]
	v_add_f64 v[195:196], v[229:230], v[195:196]
	v_mul_f64 v[58:59], v[241:242], s[24:25]
	v_mul_f64 v[62:63], v[250:251], s[24:25]
	;; [unrolled: 1-line block ×5, first 2 shown]
	v_fma_f64 v[102:103], v[98:99], s[6:7], v[74:75]
	v_mul_f64 v[209:210], v[227:228], s[36:37]
	s_mov_b32 s21, 0x3fea55e2
	v_add_f64 v[10:11], v[197:198], v[10:11]
	v_mul_f64 v[197:198], v[233:234], s[18:19]
	v_add_f64 v[237:238], v[237:238], v[16:17]
	v_mul_f64 v[227:228], v[227:228], s[20:21]
	v_add_f64 v[22:23], v[18:19], v[22:23]
	s_waitcnt_vscnt null, 0x0
	v_add_f64 v[12:13], v[181:182], v[12:13]
	v_mul_f64 v[181:182], v[241:242], s[20:21]
	v_add_f64 v[14:15], v[199:200], v[14:15]
	v_add_f64 v[199:200], v[207:208], v[245:246]
	v_fma_f64 v[207:208], v[135:136], s[6:7], v[203:204]
	v_add_f64 v[245:246], v[247:248], v[213:214]
	v_fma_f64 v[247:248], v[137:138], s[6:7], -v[215:216]
	v_add_f64 v[223:224], v[252:253], v[223:224]
	v_fma_f64 v[252:253], v[121:122], s[10:11], v[119:120]
	v_add_f64 v[195:196], v[254:255], v[195:196]
	v_fma_f64 v[254:255], v[123:124], s[10:11], -v[127:128]
	v_mul_f64 v[213:214], v[235:236], s[18:19]
	v_mul_f64 v[235:236], v[235:236], s[22:23]
	s_barrier
	buffer_gl0_inv
	v_add_f64 v[102:103], v[102:103], v[237:238]
	v_add_f64 v[237:238], v[247:248], v[245:246]
	v_fma_f64 v[245:246], v[98:99], s[14:15], v[96:97]
	v_add_f64 v[223:224], v[252:253], v[223:224]
	v_fma_f64 v[247:248], v[109:110], s[14:15], -v[171:172]
	v_add_f64 v[252:253], v[254:255], v[195:196]
	v_mul_f64 v[195:196], v[250:251], s[20:21]
	v_fma_f64 v[231:232], v[98:99], s[16:17], v[52:53]
	v_fma_f64 v[52:53], v[90:91], s[4:5], -v[141:142]
	v_fma_f64 v[229:230], v[88:89], s[14:15], v[28:29]
	v_fma_f64 v[28:29], v[109:110], s[6:7], -v[80:81]
	v_add_f64 v[8:9], v[231:232], v[8:9]
	v_fma_f64 v[231:232], v[90:91], s[14:15], -v[30:31]
	v_fma_f64 v[30:31], v[88:89], s[4:5], v[139:140]
	v_add_f64 v[22:23], v[28:29], v[22:23]
	v_fma_f64 v[28:29], v[90:91], s[16:17], -v[62:63]
	v_add_f64 v[16:17], v[229:230], v[8:9]
	v_add_f64 v[18:19], v[231:232], v[10:11]
	v_fma_f64 v[229:230], v[88:89], s[16:17], v[58:59]
	v_add_f64 v[8:9], v[30:31], v[12:13]
	v_add_f64 v[10:11], v[52:53], v[14:15]
	v_fma_f64 v[30:31], v[121:122], s[14:15], v[191:192]
	v_add_f64 v[52:53], v[207:208], v[199:200]
	v_fma_f64 v[231:232], v[123:124], s[14:15], -v[209:210]
	v_add_f64 v[14:15], v[28:29], v[22:23]
	v_mul_f64 v[199:200], v[241:242], s[22:23]
	v_mul_f64 v[207:208], v[250:251], s[22:23]
	v_fma_f64 v[28:29], v[98:99], s[4:5], v[197:198]
	v_add_f64 v[12:13], v[229:230], v[102:103]
	v_add_f64 v[102:103], v[245:246], v[223:224]
	v_mul_f64 v[245:246], v[24:25], s[28:29]
	v_fma_f64 v[223:224], v[88:89], s[6:7], v[181:182]
	v_add_f64 v[22:23], v[30:31], v[52:53]
	v_add_f64 v[30:31], v[231:232], v[237:238]
	v_fma_f64 v[52:53], v[109:110], s[4:5], -v[213:214]
	v_add_f64 v[231:232], v[247:248], v[252:253]
	v_fma_f64 v[237:238], v[90:91], s[6:7], -v[195:196]
	v_mul_f64 v[247:248], v[26:27], s[28:29]
	v_mul_f64 v[229:230], v[4:5], s[18:19]
	v_add_f64 v[24:25], v[223:224], v[102:103]
	v_add_f64 v[4:5], v[28:29], v[22:23]
	v_fma_f64 v[22:23], v[88:89], s[12:13], v[199:200]
	v_add_f64 v[28:29], v[52:53], v[30:31]
	v_fma_f64 v[30:31], v[90:91], s[12:13], -v[207:208]
	v_add_f64 v[26:27], v[237:238], v[231:232]
	v_fma_f64 v[52:53], v[173:174], s[14:15], v[245:246]
	v_mul_f64 v[237:238], v[6:7], s[18:19]
	v_fma_f64 v[6:7], v[177:178], s[14:15], -v[247:248]
	v_mul_f64 v[223:224], v[20:21], s[24:25]
	v_mul_f64 v[231:232], v[221:222], s[24:25]
	;; [unrolled: 1-line block ×6, first 2 shown]
	v_add_f64 v[20:21], v[22:23], v[4:5]
	v_fma_f64 v[4:5], v[143:144], s[4:5], v[229:230]
	v_add_f64 v[22:23], v[30:31], v[28:29]
	v_add_f64 v[28:29], v[0:1], v[52:53]
	v_fma_f64 v[30:31], v[145:146], s[4:5], -v[237:238]
	v_add_f64 v[6:7], v[2:3], v[6:7]
	v_add_f64 v[4:5], v[4:5], v[28:29]
	v_fma_f64 v[28:29], v[135:136], s[16:17], v[223:224]
	v_add_f64 v[6:7], v[30:31], v[6:7]
	v_fma_f64 v[30:31], v[137:138], s[16:17], -v[231:232]
	v_add_f64 v[4:5], v[28:29], v[4:5]
	v_fma_f64 v[28:29], v[121:122], s[6:7], v[221:222]
	v_add_f64 v[6:7], v[30:31], v[6:7]
	v_fma_f64 v[30:31], v[123:124], s[6:7], -v[227:228]
	;; [unrolled: 4-line block ×4, first 2 shown]
	v_add_f64 v[4:5], v[28:29], v[4:5]
	v_add_f64 v[6:7], v[30:31], v[6:7]
	s_and_saveexec_b32 s1, s0
	s_cbranch_execz .LBB0_25
; %bb.24:
	v_mul_f64 v[102:103], v[173:174], s[16:17]
	v_mul_f64 v[52:53], v[177:178], s[16:17]
	;; [unrolled: 1-line block ×4, first 2 shown]
	v_add_f64 v[165:166], v[2:3], v[165:166]
	v_add_f64 v[157:158], v[0:1], v[157:158]
	v_add_f64 v[102:103], v[102:103], -v[239:240]
	v_mul_f64 v[239:240], v[173:174], s[12:13]
	v_add_f64 v[52:53], v[243:244], v[52:53]
	v_mul_f64 v[243:244], v[177:178], s[12:13]
	v_add_f64 v[28:29], v[247:248], v[28:29]
	v_add_f64 v[30:31], v[30:31], -v[245:246]
	v_add_f64 v[163:164], v[165:166], v[163:164]
	v_mul_f64 v[165:166], v[145:146], s[4:5]
	v_add_f64 v[157:158], v[157:158], v[161:162]
	v_mul_f64 v[161:162], v[143:144], s[4:5]
	v_add_f64 v[102:103], v[0:1], v[102:103]
	v_add_f64 v[217:218], v[239:240], -v[217:218]
	v_mul_f64 v[239:240], v[173:174], s[10:11]
	v_add_f64 v[219:220], v[219:220], v[243:244]
	v_mul_f64 v[243:244], v[177:178], s[10:11]
	v_add_f64 v[28:29], v[2:3], v[28:29]
	v_add_f64 v[151:152], v[163:164], v[151:152]
	;; [unrolled: 1-line block ×3, first 2 shown]
	v_mul_f64 v[237:238], v[137:138], s[16:17]
	v_add_f64 v[30:31], v[0:1], v[30:31]
	v_add_f64 v[161:162], v[161:162], -v[229:230]
	v_mul_f64 v[229:230], v[135:136], s[16:17]
	v_mul_f64 v[163:164], v[123:124], s[6:7]
	v_add_f64 v[149:150], v[157:158], v[149:150]
	v_mul_f64 v[157:158], v[109:110], s[12:13]
	v_add_f64 v[52:53], v[2:3], v[52:53]
	v_add_f64 v[217:218], v[0:1], v[217:218]
	v_add_f64 v[205:206], v[239:240], -v[205:206]
	v_mul_f64 v[239:240], v[173:174], s[6:7]
	v_mul_f64 v[173:174], v[173:174], s[4:5]
	v_add_f64 v[211:212], v[211:212], v[243:244]
	v_mul_f64 v[243:244], v[177:178], s[6:7]
	v_mul_f64 v[177:178], v[177:178], s[4:5]
	v_add_f64 v[219:220], v[2:3], v[219:220]
	v_add_f64 v[231:232], v[231:232], v[237:238]
	v_mul_f64 v[237:238], v[137:138], s[6:7]
	v_add_f64 v[28:29], v[165:166], v[28:29]
	v_add_f64 v[133:134], v[151:152], v[133:134]
	v_mul_f64 v[151:152], v[143:144], s[16:17]
	v_add_f64 v[223:224], v[229:230], -v[223:224]
	v_add_f64 v[30:31], v[161:162], v[30:31]
	v_add_f64 v[131:132], v[149:150], v[131:132]
	v_mul_f64 v[149:150], v[145:146], s[16:17]
	v_add_f64 v[157:158], v[235:236], v[157:158]
	v_mul_f64 v[235:236], v[135:136], s[6:7]
	;; [unrolled: 2-line block ×3, first 2 shown]
	v_mul_f64 v[229:230], v[145:146], s[12:13]
	v_mul_f64 v[161:162], v[145:146], s[14:15]
	v_add_f64 v[205:206], v[0:1], v[205:206]
	v_add_f64 v[183:184], v[239:240], -v[183:184]
	v_add_f64 v[173:174], v[173:174], -v[175:176]
	v_mul_f64 v[239:240], v[145:146], s[6:7]
	v_add_f64 v[187:188], v[187:188], v[243:244]
	v_add_f64 v[177:178], v[179:180], v[177:178]
	v_mul_f64 v[243:244], v[143:144], s[6:7]
	v_mul_f64 v[175:176], v[143:144], s[12:13]
	v_add_f64 v[211:212], v[2:3], v[211:212]
	v_add_f64 v[215:216], v[215:216], v[237:238]
	v_mul_f64 v[237:238], v[135:136], s[12:13]
	v_add_f64 v[28:29], v[231:232], v[28:29]
	v_add_f64 v[111:112], v[133:134], v[111:112]
	v_mul_f64 v[133:134], v[123:124], s[12:13]
	v_add_f64 v[151:152], v[151:152], -v[167:168]
	v_add_f64 v[30:31], v[223:224], v[30:31]
	v_mul_f64 v[223:224], v[121:122], s[12:13]
	v_add_f64 v[105:106], v[131:132], v[105:106]
	v_mul_f64 v[131:132], v[121:122], s[16:17]
	;; [unrolled: 2-line block ×3, first 2 shown]
	v_add_f64 v[78:79], v[227:228], -v[78:79]
	v_mul_f64 v[179:180], v[90:91], s[10:11]
	v_add_f64 v[183:184], v[0:1], v[183:184]
	v_add_f64 v[0:1], v[0:1], v[173:174]
	v_mul_f64 v[173:174], v[88:89], s[10:11]
	v_add_f64 v[187:188], v[2:3], v[187:188]
	v_add_f64 v[2:3], v[2:3], v[177:178]
	v_mul_f64 v[177:178], v[98:99], s[12:13]
	v_add_f64 v[113:114], v[113:114], v[239:240]
	v_add_f64 v[117:118], v[175:176], -v[117:118]
	v_add_f64 v[107:108], v[243:244], -v[107:108]
	v_mul_f64 v[145:146], v[145:146], s[10:11]
	v_add_f64 v[28:29], v[163:164], v[28:29]
	v_mul_f64 v[163:164], v[109:110], s[16:17]
	v_add_f64 v[70:71], v[70:71], v[133:134]
	v_mul_f64 v[165:166], v[143:144], s[14:15]
	v_mul_f64 v[143:144], v[143:144], s[10:11]
	v_add_f64 v[64:65], v[223:224], -v[64:65]
	v_add_f64 v[92:93], v[111:112], v[92:93]
	v_add_f64 v[72:73], v[131:132], -v[72:73]
	v_add_f64 v[84:85], v[105:106], v[84:85]
	v_add_f64 v[119:120], v[169:170], -v[119:120]
	v_mul_f64 v[231:232], v[137:138], s[12:13]
	v_add_f64 v[179:180], v[241:242], v[179:180]
	v_mul_f64 v[241:242], v[121:122], s[6:7]
	v_add_f64 v[125:126], v[125:126], v[229:230]
	v_add_f64 v[173:174], v[173:174], -v[233:234]
	v_mul_f64 v[233:234], v[137:138], s[10:11]
	v_add_f64 v[153:154], v[153:154], v[161:162]
	v_add_f64 v[177:178], v[177:178], -v[225:226]
	v_mul_f64 v[225:226], v[135:136], s[14:15]
	v_mul_f64 v[135:136], v[135:136], s[4:5]
	v_add_f64 v[2:3], v[113:114], v[2:3]
	v_add_f64 v[0:1], v[107:108], v[0:1]
	;; [unrolled: 1-line block ×6, first 2 shown]
	v_add_f64 v[147:148], v[165:166], -v[147:148]
	v_add_f64 v[143:144], v[143:144], -v[193:194]
	v_add_f64 v[68:69], v[92:93], v[68:69]
	v_mul_f64 v[201:202], v[123:124], s[16:17]
	v_add_f64 v[66:67], v[84:85], v[66:67]
	v_add_f64 v[203:204], v[235:236], -v[203:204]
	v_mul_f64 v[235:236], v[121:122], s[4:5]
	v_mul_f64 v[193:194], v[123:124], s[4:5]
	v_add_f64 v[221:222], v[241:242], -v[221:222]
	v_mul_f64 v[241:242], v[137:138], s[14:15]
	v_mul_f64 v[137:138], v[137:138], s[4:5]
	v_add_f64 v[82:83], v[82:83], v[233:234]
	v_mul_f64 v[167:168], v[123:124], s[10:11]
	v_mul_f64 v[121:122], v[121:122], s[14:15]
	v_add_f64 v[86:87], v[225:226], -v[86:87]
	v_add_f64 v[135:136], v[135:136], -v[185:186]
	v_mul_f64 v[123:124], v[123:124], s[14:15]
	v_add_f64 v[0:1], v[78:79], v[0:1]
	v_add_f64 v[149:150], v[149:150], v[219:220]
	v_add_f64 v[125:126], v[125:126], v[187:188]
	v_add_f64 v[129:130], v[129:130], v[231:232]
	v_add_f64 v[52:53], v[145:146], v[52:53]
	v_add_f64 v[153:154], v[153:154], v[211:212]
	v_add_f64 v[115:116], v[237:238], -v[115:116]
	v_add_f64 v[113:114], v[147:148], v[205:206]
	v_add_f64 v[102:103], v[143:144], v[102:103]
	;; [unrolled: 1-line block ×4, first 2 shown]
	v_mul_f64 v[161:162], v[98:99], s[16:17]
	v_mul_f64 v[111:112], v[109:110], s[10:11]
	v_add_f64 v[30:31], v[221:222], v[30:31]
	v_add_f64 v[94:95], v[94:95], v[241:242]
	;; [unrolled: 1-line block ×4, first 2 shown]
	v_mul_f64 v[221:222], v[98:99], s[10:11]
	v_mul_f64 v[105:106], v[98:99], s[6:7]
	v_add_f64 v[78:79], v[86:87], v[107:108]
	v_add_f64 v[86:87], v[135:136], v[117:118]
	v_mul_f64 v[165:166], v[109:110], s[6:7]
	v_add_f64 v[0:1], v[64:65], v[0:1]
	v_mul_f64 v[229:230], v[98:99], s[14:15]
	v_mul_f64 v[175:176], v[109:110], s[14:15]
	;; [unrolled: 1-line block ×4, first 2 shown]
	v_add_f64 v[66:67], v[209:210], v[123:124]
	v_add_f64 v[52:53], v[215:216], v[52:53]
	v_add_f64 v[68:69], v[121:122], -v[191:192]
	v_add_f64 v[121:122], v[127:128], v[167:168]
	v_add_f64 v[76:77], v[76:77], v[201:202]
	;; [unrolled: 1-line block ×9, first 2 shown]
	s_clause 0x1
	buffer_load_dword v70, off, s[40:43], 0 offset:24
	buffer_load_dword v71, off, s[40:43], 0 offset:28
	v_add_f64 v[137:138], v[235:236], -v[155:156]
	v_add_f64 v[64:65], v[72:73], v[78:79]
	v_add_f64 v[78:79], v[119:120], v[86:87]
	s_clause 0x1
	buffer_load_dword v86, off, s[40:43], 0 offset:16
	buffer_load_dword v87, off, s[40:43], 0 offset:20
	v_add_f64 v[34:35], v[38:39], v[34:35]
	v_add_f64 v[32:33], v[36:37], v[32:33]
	v_mul_f64 v[239:240], v[88:89], s[14:15]
	v_mul_f64 v[243:244], v[90:91], s[14:15]
	v_mul_f64 v[145:146], v[88:89], s[4:5]
	v_add_f64 v[30:31], v[177:178], v[30:31]
	v_mul_f64 v[177:178], v[88:89], s[16:17]
	v_mul_f64 v[84:85], v[88:89], s[6:7]
	v_mul_f64 v[88:89], v[88:89], s[12:13]
	;; [unrolled: 4-line block ×3, first 2 shown]
	v_mul_f64 v[90:91], v[90:91], s[12:13]
	v_add_f64 v[36:37], v[213:214], v[109:110]
	v_add_f64 v[38:39], v[66:67], v[52:53]
	;; [unrolled: 1-line block ×3, first 2 shown]
	s_clause 0x1
	buffer_load_dword v2, off, s[40:43], 0 offset:8
	buffer_load_dword v3, off, s[40:43], 0 offset:12
	v_add_f64 v[52:53], v[98:99], -v[197:198]
	v_add_f64 v[66:67], v[171:172], v[175:176]
	v_add_f64 v[98:99], v[121:122], v[123:124]
	;; [unrolled: 1-line block ×4, first 2 shown]
	v_add_f64 v[56:57], v[221:222], -v[56:57]
	v_add_f64 v[80:81], v[80:81], v[165:166]
	v_add_f64 v[107:108], v[127:128], v[129:130]
	v_add_f64 v[74:75], v[105:106], -v[74:75]
	v_add_f64 v[72:73], v[137:138], v[82:83]
	v_add_f64 v[96:97], v[229:230], -v[96:97]
	v_add_f64 v[68:69], v[68:69], v[102:103]
	v_add_f64 v[34:35], v[34:35], v[42:43]
	;; [unrolled: 1-line block ×3, first 2 shown]
	v_add_f64 v[82:83], v[88:89], -v[199:200]
	v_add_f64 v[62:63], v[62:63], v[92:93]
	v_add_f64 v[58:59], v[177:178], -v[58:59]
	v_add_f64 v[40:41], v[207:208], v[90:91]
	v_add_f64 v[36:37], v[36:37], v[38:39]
	;; [unrolled: 1-line block ×4, first 2 shown]
	v_add_f64 v[66:67], v[84:85], -v[181:182]
	v_add_f64 v[84:85], v[141:142], v[157:158]
	v_add_f64 v[60:61], v[60:61], v[76:77]
	v_add_f64 v[76:77], v[145:146], -v[139:140]
	v_add_f64 v[56:57], v[56:57], v[64:65]
	v_add_f64 v[80:81], v[80:81], v[107:108]
	;; [unrolled: 1-line block ×13, first 2 shown]
	s_waitcnt vmcnt(4)
	v_add_f64 v[70:71], v[161:162], -v[70:71]
	s_waitcnt vmcnt(2)
	v_add_f64 v[86:87], v[86:87], v[243:244]
	s_waitcnt vmcnt(0)
	v_add_f64 v[88:89], v[239:240], -v[2:3]
	v_add_f64 v[70:71], v[70:71], v[0:1]
	v_lshrrev_b32_e32 v0, 1, v100
	v_add_f64 v[2:3], v[179:180], v[28:29]
	v_add_f64 v[46:47], v[86:87], v[54:55]
	;; [unrolled: 1-line block ×3, first 2 shown]
	v_mul_u32_u24_e32 v78, 26, v0
	v_add_f64 v[0:1], v[173:174], v[30:31]
	v_add_f64 v[30:31], v[40:41], v[36:37]
	;; [unrolled: 1-line block ×4, first 2 shown]
	v_or_b32_e32 v52, v78, v101
	v_lshl_add_u32 v52, v52, 4, 0
	v_add_f64 v[44:45], v[88:89], v[70:71]
	ds_write_b128 v52, v[4:7] offset:224
	ds_write_b128 v52, v[20:23] offset:256
	;; [unrolled: 1-line block ×11, first 2 shown]
	ds_write_b128 v52, v[48:51]
	ds_write_b128 v52, v[16:19] offset:384
.LBB0_25:
	s_or_b32 exec_lo, exec_lo, s1
	s_waitcnt lgkmcnt(0)
	s_barrier
	buffer_gl0_inv
	ds_read_b128 v[28:31], v249
	ds_read_b128 v[48:51], v249 offset:4576
	ds_read_b128 v[44:47], v249 offset:9152
	;; [unrolled: 1-line block ×6, first 2 shown]
	v_cmp_gt_u32_e64 s0, 0x68, v100
                                        ; implicit-def: $vgpr2_vgpr3
	s_and_saveexec_b32 s1, s0
	s_cbranch_execz .LBB0_27
; %bb.26:
	ds_read_b128 v[4:7], v249 offset:2912
	ds_read_b128 v[20:23], v249 offset:7488
	;; [unrolled: 1-line block ×7, first 2 shown]
.LBB0_27:
	s_or_b32 exec_lo, exec_lo, s1
	v_and_b32_e32 v56, 0xff, v100
	s_mov_b32 s10, 0x37e14327
	s_mov_b32 s16, 0xe976ee23
	;; [unrolled: 1-line block ×4, first 2 shown]
	v_mul_lo_u16 v56, 0x4f, v56
	s_mov_b32 s6, 0x429ad128
	s_mov_b32 s4, 0x36b3c0b5
	;; [unrolled: 1-line block ×4, first 2 shown]
	v_lshrrev_b16 v93, 11, v56
	v_mov_b32_e32 v56, 6
	s_mov_b32 s12, 0xaaaaaaaa
	s_mov_b32 s22, 0xb247c609
	;; [unrolled: 1-line block ×3, first 2 shown]
	v_mul_lo_u16 v57, v93, 26
	s_mov_b32 s14, 0x5476071b
	s_mov_b32 s23, 0x3fd5d0dc
	;; [unrolled: 1-line block ×4, first 2 shown]
	v_sub_nc_u16 v94, v100, v57
	s_mov_b32 s21, 0xbfd5d0dc
	s_mov_b32 s18, s14
	;; [unrolled: 1-line block ×4, first 2 shown]
	v_mul_u32_u24_sdwa v57, v94, v56 dst_sel:DWORD dst_unused:UNUSED_PAD src0_sel:BYTE_0 src1_sel:DWORD
	s_mov_b32 s25, 0x3fdc38aa
	v_lshlrev_b32_e32 v77, 4, v57
	s_clause 0x5
	global_load_dwordx4 v[57:60], v77, s[8:9] offset:384
	global_load_dwordx4 v[61:64], v77, s[8:9] offset:400
	;; [unrolled: 1-line block ×6, first 2 shown]
	s_waitcnt vmcnt(0) lgkmcnt(0)
	s_barrier
	buffer_gl0_inv
	v_mul_f64 v[81:82], v[50:51], v[59:60]
	v_mul_f64 v[59:60], v[48:49], v[59:60]
	;; [unrolled: 1-line block ×12, first 2 shown]
	v_fma_f64 v[48:49], v[48:49], v[57:58], -v[81:82]
	v_fma_f64 v[50:51], v[50:51], v[57:58], v[59:60]
	v_fma_f64 v[44:45], v[44:45], v[61:62], -v[83:84]
	v_fma_f64 v[46:47], v[46:47], v[61:62], v[63:64]
	;; [unrolled: 2-line block ×6, first 2 shown]
	v_add_f64 v[57:58], v[48:49], v[52:53]
	v_add_f64 v[59:60], v[50:51], v[54:55]
	;; [unrolled: 1-line block ×4, first 2 shown]
	v_add_f64 v[40:41], v[44:45], -v[40:41]
	v_add_f64 v[42:43], v[46:47], -v[42:43]
	v_add_f64 v[44:45], v[36:37], v[32:33]
	v_add_f64 v[46:47], v[38:39], v[34:35]
	v_add_f64 v[32:33], v[32:33], -v[36:37]
	v_add_f64 v[34:35], v[34:35], -v[38:39]
	;; [unrolled: 1-line block ×4, first 2 shown]
	v_add_f64 v[48:49], v[61:62], v[57:58]
	v_add_f64 v[50:51], v[63:64], v[59:60]
	v_add_f64 v[52:53], v[57:58], -v[44:45]
	v_add_f64 v[54:55], v[59:60], -v[46:47]
	;; [unrolled: 1-line block ×6, first 2 shown]
	v_add_f64 v[40:41], v[32:33], v[40:41]
	v_add_f64 v[42:43], v[34:35], v[42:43]
	v_add_f64 v[73:74], v[36:37], -v[32:33]
	v_add_f64 v[75:76], v[38:39], -v[34:35]
	v_add_f64 v[48:49], v[44:45], v[48:49]
	v_add_f64 v[50:51], v[46:47], v[50:51]
	v_add_f64 v[44:45], v[44:45], -v[61:62]
	v_add_f64 v[46:47], v[46:47], -v[63:64]
	v_mul_f64 v[52:53], v[52:53], s[10:11]
	v_mul_f64 v[54:55], v[54:55], s[10:11]
	;; [unrolled: 1-line block ×6, first 2 shown]
	v_add_f64 v[36:37], v[40:41], v[36:37]
	v_add_f64 v[38:39], v[42:43], v[38:39]
	;; [unrolled: 1-line block ×4, first 2 shown]
	v_add_f64 v[28:29], v[61:62], -v[57:58]
	v_add_f64 v[30:31], v[63:64], -v[59:60]
	v_mul_f64 v[57:58], v[44:45], s[4:5]
	v_mul_f64 v[59:60], v[46:47], s[4:5]
	v_fma_f64 v[40:41], v[44:45], s[4:5], v[52:53]
	v_fma_f64 v[42:43], v[46:47], s[4:5], v[54:55]
	;; [unrolled: 1-line block ×4, first 2 shown]
	v_fma_f64 v[61:62], v[69:70], s[6:7], -v[65:66]
	v_fma_f64 v[63:64], v[71:72], s[6:7], -v[67:68]
	;; [unrolled: 1-line block ×4, first 2 shown]
	v_mov_b32_e32 v73, 0xb60
	v_fma_f64 v[48:49], v[48:49], s[12:13], v[32:33]
	v_fma_f64 v[50:51], v[50:51], s[12:13], v[34:35]
	v_fma_f64 v[52:53], v[28:29], s[18:19], -v[52:53]
	v_fma_f64 v[54:55], v[30:31], s[18:19], -v[54:55]
	;; [unrolled: 1-line block ×4, first 2 shown]
	v_fma_f64 v[59:60], v[36:37], s[24:25], v[44:45]
	v_fma_f64 v[57:58], v[38:39], s[24:25], v[46:47]
	;; [unrolled: 1-line block ×6, first 2 shown]
	v_add_f64 v[69:70], v[40:41], v[48:49]
	v_add_f64 v[71:72], v[42:43], v[50:51]
	;; [unrolled: 1-line block ×7, first 2 shown]
	v_add_f64 v[38:39], v[71:72], -v[59:60]
	v_add_f64 v[40:41], v[67:68], v[52:53]
	v_add_f64 v[42:43], v[54:55], -v[65:66]
	v_add_f64 v[44:45], v[28:29], -v[63:64]
	v_add_f64 v[46:47], v[61:62], v[30:31]
	v_add_f64 v[48:49], v[63:64], v[28:29]
	v_add_f64 v[50:51], v[30:31], -v[61:62]
	v_add_f64 v[52:53], v[52:53], -v[67:68]
	v_add_f64 v[54:55], v[65:66], v[54:55]
	v_add_f64 v[57:58], v[69:70], -v[57:58]
	v_add_f64 v[59:60], v[59:60], v[71:72]
	v_mov_b32_e32 v28, 4
	v_mul_u32_u24_sdwa v29, v93, v73 dst_sel:DWORD dst_unused:UNUSED_PAD src0_sel:WORD_0 src1_sel:DWORD
	v_lshlrev_b32_sdwa v30, v28, v94 dst_sel:DWORD dst_unused:UNUSED_PAD src0_sel:DWORD src1_sel:BYTE_0
	v_add3_u32 v29, 0, v29, v30
	ds_write_b128 v29, v[32:35]
	ds_write_b128 v29, v[36:39] offset:416
	ds_write_b128 v29, v[40:43] offset:832
	;; [unrolled: 1-line block ×6, first 2 shown]
	s_and_saveexec_b32 s1, s0
	s_cbranch_execz .LBB0_29
; %bb.28:
	v_mov_b32_e32 v29, 0x4ec5
	v_mul_u32_u24_sdwa v29, v104, v29 dst_sel:DWORD dst_unused:UNUSED_PAD src0_sel:WORD_0 src1_sel:DWORD
	v_lshrrev_b32_e32 v65, 19, v29
	v_mul_lo_u16 v29, v65, 26
	v_sub_nc_u16 v66, v104, v29
	v_mul_u32_u24_sdwa v29, v66, v56 dst_sel:DWORD dst_unused:UNUSED_PAD src0_sel:WORD_0 src1_sel:DWORD
	v_lshlrev_b32_e32 v49, 4, v29
	s_clause 0x5
	global_load_dwordx4 v[29:32], v49, s[8:9] offset:400
	global_load_dwordx4 v[33:36], v49, s[8:9] offset:448
	;; [unrolled: 1-line block ×6, first 2 shown]
	s_waitcnt vmcnt(5)
	v_mul_f64 v[53:54], v[26:27], v[31:32]
	s_waitcnt vmcnt(4)
	v_mul_f64 v[55:56], v[18:19], v[35:36]
	v_mul_f64 v[31:32], v[24:25], v[31:32]
	v_mul_f64 v[35:36], v[16:17], v[35:36]
	s_waitcnt vmcnt(3)
	v_mul_f64 v[57:58], v[20:21], v[39:40]
	s_waitcnt vmcnt(2)
	v_mul_f64 v[59:60], v[0:1], v[43:44]
	v_mul_f64 v[39:40], v[22:23], v[39:40]
	v_mul_f64 v[43:44], v[2:3], v[43:44]
	;; [unrolled: 6-line block ×3, first 2 shown]
	v_fma_f64 v[24:25], v[24:25], v[29:30], -v[53:54]
	v_fma_f64 v[16:17], v[16:17], v[33:34], -v[55:56]
	v_fma_f64 v[26:27], v[26:27], v[29:30], v[31:32]
	v_fma_f64 v[18:19], v[18:19], v[33:34], v[35:36]
	;; [unrolled: 1-line block ×4, first 2 shown]
	v_fma_f64 v[20:21], v[20:21], v[37:38], -v[39:40]
	v_fma_f64 v[0:1], v[0:1], v[41:42], -v[43:44]
	;; [unrolled: 1-line block ×4, first 2 shown]
	v_fma_f64 v[14:15], v[14:15], v[49:50], v[51:52]
	v_fma_f64 v[10:11], v[10:11], v[45:46], v[47:48]
	v_add_f64 v[33:34], v[24:25], v[16:17]
	v_add_f64 v[16:17], v[24:25], -v[16:17]
	v_add_f64 v[29:30], v[26:27], v[18:19]
	v_add_f64 v[31:32], v[22:23], v[2:3]
	;; [unrolled: 1-line block ×3, first 2 shown]
	v_add_f64 v[37:38], v[8:9], -v[12:13]
	v_add_f64 v[8:9], v[12:13], v[8:9]
	v_add_f64 v[24:25], v[14:15], v[10:11]
	v_add_f64 v[10:11], v[10:11], -v[14:15]
	v_add_f64 v[12:13], v[26:27], -v[18:19]
	;; [unrolled: 1-line block ×4, first 2 shown]
	v_add_f64 v[0:1], v[29:30], v[31:32]
	v_add_f64 v[18:19], v[33:34], v[35:36]
	v_add_f64 v[2:3], v[37:38], -v[16:17]
	v_add_f64 v[26:27], v[35:36], -v[8:9]
	;; [unrolled: 1-line block ×6, first 2 shown]
	v_add_f64 v[16:17], v[37:38], v[16:17]
	v_add_f64 v[37:38], v[14:15], -v[37:38]
	v_add_f64 v[12:13], v[10:11], v[12:13]
	v_add_f64 v[10:11], v[20:21], -v[10:11]
	;; [unrolled: 2-line block ×4, first 2 shown]
	v_mul_f64 v[47:48], v[2:3], s[16:17]
	v_mul_f64 v[26:27], v[26:27], s[10:11]
	;; [unrolled: 1-line block ×5, first 2 shown]
	v_add_f64 v[14:15], v[16:17], v[14:15]
	v_add_f64 v[12:13], v[12:13], v[20:21]
	;; [unrolled: 1-line block ×3, first 2 shown]
	v_mul_f64 v[6:7], v[24:25], s[4:5]
	v_add_f64 v[0:1], v[4:5], v[18:19]
	v_add_f64 v[4:5], v[29:30], -v[31:32]
	v_mul_f64 v[29:30], v[45:46], s[6:7]
	v_add_f64 v[31:32], v[33:34], -v[35:36]
	v_mul_f64 v[33:34], v[8:9], s[4:5]
	v_fma_f64 v[16:17], v[37:38], s[22:23], v[47:48]
	v_fma_f64 v[20:21], v[24:25], s[4:5], v[22:23]
	;; [unrolled: 1-line block ×4, first 2 shown]
	v_fma_f64 v[35:36], v[37:38], s[20:21], -v[49:50]
	v_fma_f64 v[37:38], v[41:42], s[6:7], -v[47:48]
	v_fma_f64 v[41:42], v[43:44], s[12:13], v[2:3]
	v_fma_f64 v[18:19], v[18:19], s[12:13], v[0:1]
	v_fma_f64 v[22:23], v[4:5], s[18:19], -v[22:23]
	v_fma_f64 v[4:5], v[4:5], s[14:15], -v[6:7]
	;; [unrolled: 1-line block ×6, first 2 shown]
	v_fma_f64 v[16:17], v[14:15], s[24:25], v[16:17]
	v_fma_f64 v[24:25], v[12:13], s[24:25], v[24:25]
	;; [unrolled: 1-line block ×4, first 2 shown]
	v_add_f64 v[20:21], v[20:21], v[41:42]
	v_add_f64 v[8:9], v[8:9], v[18:19]
	;; [unrolled: 1-line block ×4, first 2 shown]
	v_fma_f64 v[37:38], v[12:13], s[24:25], v[6:7]
	v_add_f64 v[39:40], v[26:27], v[18:19]
	v_fma_f64 v[12:13], v[12:13], s[24:25], v[10:11]
	v_add_f64 v[29:30], v[29:30], v[18:19]
	v_add_f64 v[26:27], v[20:21], -v[16:17]
	v_add_f64 v[6:7], v[16:17], v[20:21]
	v_add_f64 v[4:5], v[8:9], -v[24:25]
	v_add_f64 v[24:25], v[24:25], v[8:9]
	v_add_f64 v[10:11], v[31:32], v[22:23]
	v_add_f64 v[22:23], v[22:23], -v[31:32]
	v_add_f64 v[20:21], v[37:38], v[39:40]
	v_add_f64 v[18:19], v[33:34], v[35:36]
	v_add_f64 v[16:17], v[29:30], -v[12:13]
	v_add_f64 v[14:15], v[35:36], -v[33:34]
	v_add_f64 v[12:13], v[12:13], v[29:30]
	v_add_f64 v[8:9], v[39:40], -v[37:38]
	v_mul_lo_u16 v29, 0xb6, v65
	v_lshlrev_b32_sdwa v29, v28, v29 dst_sel:DWORD dst_unused:UNUSED_PAD src0_sel:DWORD src1_sel:WORD_0
	v_lshlrev_b32_sdwa v28, v28, v66 dst_sel:DWORD dst_unused:UNUSED_PAD src0_sel:DWORD src1_sel:WORD_0
	v_add3_u32 v28, 0, v28, v29
	ds_write_b128 v28, v[0:3]
	ds_write_b128 v28, v[24:27] offset:416
	ds_write_b128 v28, v[20:23] offset:832
	;; [unrolled: 1-line block ×6, first 2 shown]
.LBB0_29:
	s_or_b32 exec_lo, exec_lo, s1
	v_mul_u32_u24_e32 v0, 10, v100
	s_waitcnt lgkmcnt(0)
	s_barrier
	buffer_gl0_inv
	s_mov_b32 s16, 0xf8bb580b
	v_lshlrev_b32_e32 v0, 4, v0
	s_mov_b32 s17, 0xbfe14ced
	s_mov_b32 s13, 0xbfed1bb4
	;; [unrolled: 1-line block ×4, first 2 shown]
	v_add_co_u32 v16, s0, s8, v0
	v_add_co_ci_u32_e64 v17, null, s9, 0, s0
	s_mov_b32 s15, 0xbfefac9e
	v_add_co_u32 v0, s0, 0xb40, v16
	v_add_co_ci_u32_e64 v1, s0, 0, v17, s0
	v_add_co_u32 v2, s0, 0x800, v16
	v_add_co_ci_u32_e64 v3, s0, 0, v17, s0
	;; [unrolled: 2-line block ×3, first 2 shown]
	s_clause 0x2
	global_load_dwordx4 v[4:7], v[2:3], off offset:832
	global_load_dwordx4 v[8:11], v[0:1], off offset:16
	;; [unrolled: 1-line block ×3, first 2 shown]
	v_add_co_u32 v40, s0, 0xb80, v16
	v_add_co_ci_u32_e64 v41, s0, 0, v17, s0
	s_clause 0x6
	global_load_dwordx4 v[16:19], v[2:3], off offset:960
	global_load_dwordx4 v[20:23], v[0:1], off offset:32
	;; [unrolled: 1-line block ×7, first 2 shown]
	ds_read_b128 v[0:3], v249
	ds_read_b128 v[44:47], v249 offset:2912
	ds_read_b128 v[48:51], v249 offset:5824
	;; [unrolled: 1-line block ×10, first 2 shown]
	s_mov_b32 s18, 0xbb3a28a1
	s_mov_b32 s19, 0xbfe82f19
	s_mov_b32 s20, 0xfd768dbf
	s_mov_b32 s21, 0xbfd207e7
	s_mov_b32 s4, 0x8764f0ba
	s_mov_b32 s5, 0x3feaeb8c
	s_mov_b32 s0, 0xd9c712b6
	s_mov_b32 s1, 0x3fda9628
	s_mov_b32 s6, 0x640f44db
	s_mov_b32 s7, 0xbfc2375f
	s_mov_b32 s8, 0x7f775887
	s_mov_b32 s23, 0x3fd207e7
	s_mov_b32 s25, 0x3fefac9e
	s_mov_b32 s27, 0x3fe14ced
	s_mov_b32 s22, s20
	s_mov_b32 s24, s14
	s_mov_b32 s26, s16
	s_mov_b32 s9, 0xbfe4f49e
	s_mov_b32 s10, 0x9bcd5057
	s_mov_b32 s11, 0xbfeeb42a
	s_waitcnt vmcnt(0) lgkmcnt(0)
	s_barrier
	buffer_gl0_inv
	v_mul_f64 v[84:85], v[46:47], v[6:7]
	v_mul_f64 v[6:7], v[44:45], v[6:7]
	;; [unrolled: 1-line block ×20, first 2 shown]
	v_fma_f64 v[44:45], v[44:45], v[4:5], -v[84:85]
	v_fma_f64 v[4:5], v[46:47], v[4:5], v[6:7]
	v_fma_f64 v[46:47], v[82:83], v[12:13], v[86:87]
	v_fma_f64 v[80:81], v[80:81], v[12:13], -v[14:15]
	v_fma_f64 v[6:7], v[48:49], v[8:9], -v[88:89]
	v_fma_f64 v[8:9], v[50:51], v[8:9], v[10:11]
	v_fma_f64 v[10:11], v[76:77], v[16:17], -v[90:91]
	v_fma_f64 v[12:13], v[78:79], v[16:17], v[18:19]
	;; [unrolled: 2-line block ×8, first 2 shown]
	v_add_f64 v[38:39], v[0:1], v[44:45]
	v_add_f64 v[40:41], v[2:3], v[4:5]
	v_add_f64 v[42:43], v[4:5], -v[46:47]
	v_add_f64 v[48:49], v[44:45], -v[80:81]
	v_add_f64 v[44:45], v[44:45], v[80:81]
	v_add_f64 v[4:5], v[4:5], v[46:47]
	v_add_f64 v[50:51], v[6:7], v[10:11]
	v_add_f64 v[52:53], v[8:9], v[12:13]
	v_add_f64 v[54:55], v[6:7], -v[10:11]
	v_add_f64 v[56:57], v[8:9], -v[12:13]
	;; [unrolled: 1-line block ×4, first 2 shown]
	v_add_f64 v[58:59], v[14:15], v[18:19]
	v_add_f64 v[60:61], v[16:17], v[20:21]
	v_add_f64 v[70:71], v[22:23], -v[26:27]
	v_add_f64 v[72:73], v[24:25], -v[28:29]
	v_add_f64 v[66:67], v[22:23], v[26:27]
	v_add_f64 v[68:69], v[24:25], v[28:29]
	v_add_f64 v[78:79], v[30:31], -v[34:35]
	v_add_f64 v[82:83], v[32:33], -v[36:37]
	v_add_f64 v[74:75], v[30:31], v[34:35]
	v_add_f64 v[76:77], v[32:33], v[36:37]
	;; [unrolled: 1-line block ×4, first 2 shown]
	v_mul_f64 v[38:39], v[42:43], s[16:17]
	v_mul_f64 v[40:41], v[48:49], s[16:17]
	;; [unrolled: 1-line block ×12, first 2 shown]
	s_mov_b32 s13, 0x3fed1bb4
	v_mul_f64 v[101:102], v[56:57], s[18:19]
	v_mul_f64 v[103:104], v[54:55], s[18:19]
	;; [unrolled: 1-line block ×7, first 2 shown]
	v_add_f64 v[6:7], v[6:7], v[14:15]
	v_add_f64 v[8:9], v[8:9], v[16:17]
	v_fma_f64 v[14:15], v[44:45], s[4:5], -v[38:39]
	v_fma_f64 v[16:17], v[4:5], s[4:5], v[40:41]
	v_fma_f64 v[38:39], v[44:45], s[4:5], v[38:39]
	v_fma_f64 v[40:41], v[4:5], s[4:5], -v[40:41]
	v_fma_f64 v[161:162], v[44:45], s[0:1], -v[84:85]
	v_fma_f64 v[163:164], v[4:5], s[0:1], v[86:87]
	v_mul_f64 v[54:55], v[54:55], s[26:27]
	v_mul_f64 v[113:114], v[64:65], s[14:15]
	;; [unrolled: 1-line block ×14, first 2 shown]
	v_add_f64 v[6:7], v[6:7], v[22:23]
	v_add_f64 v[8:9], v[8:9], v[24:25]
	v_mul_f64 v[139:140], v[70:71], s[16:17]
	v_mul_f64 v[141:142], v[72:73], s[20:21]
	;; [unrolled: 1-line block ×17, first 2 shown]
	v_fma_f64 v[84:85], v[44:45], s[0:1], v[84:85]
	v_fma_f64 v[165:166], v[44:45], s[6:7], -v[88:89]
	v_fma_f64 v[167:168], v[4:5], s[6:7], v[90:91]
	v_fma_f64 v[88:89], v[44:45], s[6:7], v[88:89]
	v_fma_f64 v[169:170], v[44:45], s[8:9], -v[92:93]
	v_fma_f64 v[171:172], v[4:5], s[8:9], v[94:95]
	v_fma_f64 v[92:93], v[44:45], s[8:9], v[92:93]
	v_fma_f64 v[173:174], v[44:45], s[10:11], -v[42:43]
	v_fma_f64 v[175:176], v[4:5], s[10:11], v[48:49]
	v_fma_f64 v[86:87], v[4:5], s[0:1], -v[86:87]
	v_fma_f64 v[90:91], v[4:5], s[6:7], -v[90:91]
	;; [unrolled: 1-line block ×3, first 2 shown]
	v_fma_f64 v[42:43], v[44:45], s[10:11], v[42:43]
	v_fma_f64 v[4:5], v[4:5], s[10:11], -v[48:49]
	v_add_f64 v[6:7], v[6:7], v[30:31]
	v_add_f64 v[8:9], v[8:9], v[32:33]
	v_fma_f64 v[44:45], v[50:51], s[0:1], -v[96:97]
	v_fma_f64 v[48:49], v[52:53], s[0:1], v[98:99]
	v_add_f64 v[14:15], v[0:1], v[14:15]
	v_add_f64 v[16:17], v[2:3], v[16:17]
	v_fma_f64 v[96:97], v[50:51], s[0:1], v[96:97]
	v_fma_f64 v[98:99], v[52:53], s[0:1], -v[98:99]
	v_fma_f64 v[177:178], v[50:51], s[8:9], -v[101:102]
	v_fma_f64 v[179:180], v[52:53], s[8:9], v[103:104]
	v_add_f64 v[30:31], v[0:1], v[38:39]
	v_add_f64 v[32:33], v[2:3], v[40:41]
	;; [unrolled: 1-line block ×4, first 2 shown]
	v_fma_f64 v[101:102], v[50:51], s[8:9], v[101:102]
	v_fma_f64 v[103:104], v[52:53], s[8:9], -v[103:104]
	v_fma_f64 v[181:182], v[50:51], s[10:11], -v[105:106]
	v_fma_f64 v[183:184], v[52:53], s[10:11], v[107:108]
	v_fma_f64 v[105:106], v[50:51], s[10:11], v[105:106]
	v_fma_f64 v[107:108], v[52:53], s[10:11], -v[107:108]
	v_fma_f64 v[185:186], v[50:51], s[6:7], -v[109:110]
	v_fma_f64 v[187:188], v[52:53], s[6:7], v[111:112]
	;; [unrolled: 4-line block ×18, first 2 shown]
	v_fma_f64 v[74:75], v[74:75], s[0:1], v[82:83]
	v_fma_f64 v[76:77], v[76:77], s[0:1], -v[78:79]
	v_add_f64 v[78:79], v[0:1], v[84:85]
	v_add_f64 v[82:83], v[0:1], v[165:166]
	;; [unrolled: 1-line block ×104, first 2 shown]
	ds_write_b128 v249, v[0:3] offset:2912
	ds_write_b128 v249, v[8:11] offset:5824
	;; [unrolled: 1-line block ×10, first 2 shown]
	ds_write_b128 v249, v[40:43]
	s_waitcnt lgkmcnt(0)
	s_barrier
	buffer_gl0_inv
	s_and_saveexec_b32 s0, vcc_lo
	s_cbranch_execz .LBB0_31
; %bb.30:
	v_lshl_add_u32 v28, v100, 4, 0
	v_mov_b32_e32 v101, 0
	v_add_nc_u32_e32 v8, 0xb6, v100
	v_add_nc_u32_e32 v14, 0x222, v100
	;; [unrolled: 1-line block ×3, first 2 shown]
	ds_read_b128 v[0:3], v28
	ds_read_b128 v[4:7], v28 offset:2912
	s_clause 0x1
	buffer_load_dword v12, off, s[40:43], 0
	buffer_load_dword v13, off, s[40:43], 0 offset:4
	v_mov_b32_e32 v9, v101
	v_lshlrev_b64 v[10:11], 4, v[100:101]
	v_mov_b32_e32 v15, v101
	v_mov_b32_e32 v23, v101
	v_add_nc_u32_e32 v24, 0x444, v100
	v_lshlrev_b64 v[8:9], 4, v[8:9]
	v_mov_b32_e32 v25, v101
	v_lshlrev_b64 v[18:19], 4, v[14:15]
	v_lshlrev_b64 v[22:23], 4, v[22:23]
	s_waitcnt vmcnt(1)
	v_add_co_u32 v30, vcc_lo, s2, v12
	s_waitcnt vmcnt(0)
	v_add_co_ci_u32_e32 v31, vcc_lo, s3, v13, vcc_lo
	v_add_nc_u32_e32 v12, 0x16c, v100
	v_add_co_u32 v10, vcc_lo, v30, v10
	v_mov_b32_e32 v13, v101
	v_add_co_ci_u32_e32 v11, vcc_lo, v31, v11, vcc_lo
	v_add_co_u32 v8, vcc_lo, v30, v8
	v_add_co_ci_u32_e32 v9, vcc_lo, v31, v9, vcc_lo
	v_lshlrev_b64 v[12:13], 4, v[12:13]
	s_waitcnt lgkmcnt(1)
	global_store_dwordx4 v[10:11], v[0:3], off
	s_waitcnt lgkmcnt(0)
	global_store_dwordx4 v[8:9], v[4:7], off
	v_add_nc_u32_e32 v8, 0x2d8, v100
	v_mov_b32_e32 v9, v101
	ds_read_b128 v[0:3], v28 offset:5824
	ds_read_b128 v[4:7], v28 offset:8736
	v_add_co_u32 v16, vcc_lo, v30, v12
	v_add_co_ci_u32_e32 v17, vcc_lo, v31, v13, vcc_lo
	v_lshlrev_b64 v[20:21], 4, v[8:9]
	ds_read_b128 v[8:11], v28 offset:11648
	ds_read_b128 v[12:15], v28 offset:14560
	v_add_co_u32 v18, vcc_lo, v30, v18
	v_add_co_ci_u32_e32 v19, vcc_lo, v31, v19, vcc_lo
	v_add_co_u32 v20, vcc_lo, v30, v20
	v_add_co_ci_u32_e32 v21, vcc_lo, v31, v21, vcc_lo
	v_add_co_u32 v22, vcc_lo, v30, v22
	s_waitcnt lgkmcnt(3)
	global_store_dwordx4 v[16:17], v[0:3], off
	s_waitcnt lgkmcnt(2)
	global_store_dwordx4 v[18:19], v[4:7], off
	v_add_nc_u32_e32 v2, 0x4fa, v100
	v_mov_b32_e32 v3, v101
	v_add_co_ci_u32_e32 v23, vcc_lo, v31, v23, vcc_lo
	v_lshlrev_b64 v[0:1], 4, v[24:25]
	s_waitcnt lgkmcnt(1)
	global_store_dwordx4 v[20:21], v[8:11], off
	s_waitcnt lgkmcnt(0)
	global_store_dwordx4 v[22:23], v[12:15], off
	v_lshlrev_b64 v[8:9], 4, v[2:3]
	v_add_nc_u32_e32 v10, 0x5b0, v100
	v_mov_b32_e32 v11, v101
	v_add_co_u32 v20, vcc_lo, v30, v0
	v_add_co_ci_u32_e32 v21, vcc_lo, v31, v1, vcc_lo
	v_add_co_u32 v22, vcc_lo, v30, v8
	ds_read_b128 v[0:3], v28 offset:17472
	ds_read_b128 v[4:7], v28 offset:20384
	v_add_co_ci_u32_e32 v23, vcc_lo, v31, v9, vcc_lo
	v_lshlrev_b64 v[26:27], 4, v[10:11]
	ds_read_b128 v[8:11], v28 offset:23296
	ds_read_b128 v[12:15], v28 offset:26208
	ds_read_b128 v[16:19], v28 offset:29120
	v_add_nc_u32_e32 v24, 0x666, v100
	v_add_nc_u32_e32 v100, 0x71c, v100
	v_add_co_u32 v26, vcc_lo, v30, v26
	v_lshlrev_b64 v[24:25], 4, v[24:25]
	v_lshlrev_b64 v[28:29], 4, v[100:101]
	v_add_co_ci_u32_e32 v27, vcc_lo, v31, v27, vcc_lo
	v_add_co_u32 v24, vcc_lo, v30, v24
	v_add_co_ci_u32_e32 v25, vcc_lo, v31, v25, vcc_lo
	v_add_co_u32 v28, vcc_lo, v30, v28
	v_add_co_ci_u32_e32 v29, vcc_lo, v31, v29, vcc_lo
	s_waitcnt lgkmcnt(4)
	global_store_dwordx4 v[20:21], v[0:3], off
	s_waitcnt lgkmcnt(3)
	global_store_dwordx4 v[22:23], v[4:7], off
	;; [unrolled: 2-line block ×5, first 2 shown]
.LBB0_31:
	s_endpgm
	.section	.rodata,"a",@progbits
	.p2align	6, 0x0
	.amdhsa_kernel fft_rtc_fwd_len2002_factors_2_13_7_11_wgs_182_tpt_182_halfLds_dp_ip_CI_unitstride_sbrr_C2R_dirReg
		.amdhsa_group_segment_fixed_size 0
		.amdhsa_private_segment_fixed_size 36
		.amdhsa_kernarg_size 88
		.amdhsa_user_sgpr_count 6
		.amdhsa_user_sgpr_private_segment_buffer 1
		.amdhsa_user_sgpr_dispatch_ptr 0
		.amdhsa_user_sgpr_queue_ptr 0
		.amdhsa_user_sgpr_kernarg_segment_ptr 1
		.amdhsa_user_sgpr_dispatch_id 0
		.amdhsa_user_sgpr_flat_scratch_init 0
		.amdhsa_user_sgpr_private_segment_size 0
		.amdhsa_wavefront_size32 1
		.amdhsa_uses_dynamic_stack 0
		.amdhsa_system_sgpr_private_segment_wavefront_offset 1
		.amdhsa_system_sgpr_workgroup_id_x 1
		.amdhsa_system_sgpr_workgroup_id_y 0
		.amdhsa_system_sgpr_workgroup_id_z 0
		.amdhsa_system_sgpr_workgroup_info 0
		.amdhsa_system_vgpr_workitem_id 0
		.amdhsa_next_free_vgpr 256
		.amdhsa_next_free_sgpr 44
		.amdhsa_reserve_vcc 1
		.amdhsa_reserve_flat_scratch 0
		.amdhsa_float_round_mode_32 0
		.amdhsa_float_round_mode_16_64 0
		.amdhsa_float_denorm_mode_32 3
		.amdhsa_float_denorm_mode_16_64 3
		.amdhsa_dx10_clamp 1
		.amdhsa_ieee_mode 1
		.amdhsa_fp16_overflow 0
		.amdhsa_workgroup_processor_mode 1
		.amdhsa_memory_ordered 1
		.amdhsa_forward_progress 0
		.amdhsa_shared_vgpr_count 0
		.amdhsa_exception_fp_ieee_invalid_op 0
		.amdhsa_exception_fp_denorm_src 0
		.amdhsa_exception_fp_ieee_div_zero 0
		.amdhsa_exception_fp_ieee_overflow 0
		.amdhsa_exception_fp_ieee_underflow 0
		.amdhsa_exception_fp_ieee_inexact 0
		.amdhsa_exception_int_div_zero 0
	.end_amdhsa_kernel
	.text
.Lfunc_end0:
	.size	fft_rtc_fwd_len2002_factors_2_13_7_11_wgs_182_tpt_182_halfLds_dp_ip_CI_unitstride_sbrr_C2R_dirReg, .Lfunc_end0-fft_rtc_fwd_len2002_factors_2_13_7_11_wgs_182_tpt_182_halfLds_dp_ip_CI_unitstride_sbrr_C2R_dirReg
                                        ; -- End function
	.section	.AMDGPU.csdata,"",@progbits
; Kernel info:
; codeLenInByte = 14828
; NumSgprs: 46
; NumVgprs: 256
; ScratchSize: 36
; MemoryBound: 0
; FloatMode: 240
; IeeeMode: 1
; LDSByteSize: 0 bytes/workgroup (compile time only)
; SGPRBlocks: 5
; VGPRBlocks: 31
; NumSGPRsForWavesPerEU: 46
; NumVGPRsForWavesPerEU: 256
; Occupancy: 4
; WaveLimiterHint : 1
; COMPUTE_PGM_RSRC2:SCRATCH_EN: 1
; COMPUTE_PGM_RSRC2:USER_SGPR: 6
; COMPUTE_PGM_RSRC2:TRAP_HANDLER: 0
; COMPUTE_PGM_RSRC2:TGID_X_EN: 1
; COMPUTE_PGM_RSRC2:TGID_Y_EN: 0
; COMPUTE_PGM_RSRC2:TGID_Z_EN: 0
; COMPUTE_PGM_RSRC2:TIDIG_COMP_CNT: 0
	.text
	.p2alignl 6, 3214868480
	.fill 48, 4, 3214868480
	.type	__hip_cuid_1a74f7de0ecfd958,@object ; @__hip_cuid_1a74f7de0ecfd958
	.section	.bss,"aw",@nobits
	.globl	__hip_cuid_1a74f7de0ecfd958
__hip_cuid_1a74f7de0ecfd958:
	.byte	0                               ; 0x0
	.size	__hip_cuid_1a74f7de0ecfd958, 1

	.ident	"AMD clang version 19.0.0git (https://github.com/RadeonOpenCompute/llvm-project roc-6.4.0 25133 c7fe45cf4b819c5991fe208aaa96edf142730f1d)"
	.section	".note.GNU-stack","",@progbits
	.addrsig
	.addrsig_sym __hip_cuid_1a74f7de0ecfd958
	.amdgpu_metadata
---
amdhsa.kernels:
  - .args:
      - .actual_access:  read_only
        .address_space:  global
        .offset:         0
        .size:           8
        .value_kind:     global_buffer
      - .offset:         8
        .size:           8
        .value_kind:     by_value
      - .actual_access:  read_only
        .address_space:  global
        .offset:         16
        .size:           8
        .value_kind:     global_buffer
      - .actual_access:  read_only
        .address_space:  global
        .offset:         24
        .size:           8
        .value_kind:     global_buffer
      - .offset:         32
        .size:           8
        .value_kind:     by_value
      - .actual_access:  read_only
        .address_space:  global
        .offset:         40
        .size:           8
        .value_kind:     global_buffer
      - .actual_access:  read_only
        .address_space:  global
        .offset:         48
        .size:           8
        .value_kind:     global_buffer
      - .offset:         56
        .size:           4
        .value_kind:     by_value
      - .actual_access:  read_only
        .address_space:  global
        .offset:         64
        .size:           8
        .value_kind:     global_buffer
      - .actual_access:  read_only
        .address_space:  global
        .offset:         72
        .size:           8
        .value_kind:     global_buffer
      - .address_space:  global
        .offset:         80
        .size:           8
        .value_kind:     global_buffer
    .group_segment_fixed_size: 0
    .kernarg_segment_align: 8
    .kernarg_segment_size: 88
    .language:       OpenCL C
    .language_version:
      - 2
      - 0
    .max_flat_workgroup_size: 182
    .name:           fft_rtc_fwd_len2002_factors_2_13_7_11_wgs_182_tpt_182_halfLds_dp_ip_CI_unitstride_sbrr_C2R_dirReg
    .private_segment_fixed_size: 36
    .sgpr_count:     46
    .sgpr_spill_count: 0
    .symbol:         fft_rtc_fwd_len2002_factors_2_13_7_11_wgs_182_tpt_182_halfLds_dp_ip_CI_unitstride_sbrr_C2R_dirReg.kd
    .uniform_work_group_size: 1
    .uses_dynamic_stack: false
    .vgpr_count:     256
    .vgpr_spill_count: 8
    .wavefront_size: 32
    .workgroup_processor_mode: 1
amdhsa.target:   amdgcn-amd-amdhsa--gfx1030
amdhsa.version:
  - 1
  - 2
...

	.end_amdgpu_metadata
